;; amdgpu-corpus repo=ROCm/rocFFT kind=compiled arch=gfx1100 opt=O3
	.text
	.amdgcn_target "amdgcn-amd-amdhsa--gfx1100"
	.amdhsa_code_object_version 6
	.protected	fft_rtc_fwd_len208_factors_13_16_wgs_144_tpt_16_dp_op_CI_CI_sbcc_twdbase8_3step_dirReg_intrinsicReadWrite ; -- Begin function fft_rtc_fwd_len208_factors_13_16_wgs_144_tpt_16_dp_op_CI_CI_sbcc_twdbase8_3step_dirReg_intrinsicReadWrite
	.globl	fft_rtc_fwd_len208_factors_13_16_wgs_144_tpt_16_dp_op_CI_CI_sbcc_twdbase8_3step_dirReg_intrinsicReadWrite
	.p2align	8
	.type	fft_rtc_fwd_len208_factors_13_16_wgs_144_tpt_16_dp_op_CI_CI_sbcc_twdbase8_3step_dirReg_intrinsicReadWrite,@function
fft_rtc_fwd_len208_factors_13_16_wgs_144_tpt_16_dp_op_CI_CI_sbcc_twdbase8_3step_dirReg_intrinsicReadWrite: ; @fft_rtc_fwd_len208_factors_13_16_wgs_144_tpt_16_dp_op_CI_CI_sbcc_twdbase8_3step_dirReg_intrinsicReadWrite
; %bb.0:
	s_clause 0x1
	s_load_b128 s[20:23], s[0:1], 0x18
	s_load_b64 s[28:29], s[0:1], 0x28
	s_mov_b32 s30, s15
	s_mov_b32 s31, 0
	s_waitcnt lgkmcnt(0)
	s_load_b64 s[26:27], s[20:21], 0x8
	s_waitcnt lgkmcnt(0)
	s_add_u32 s2, s26, -1
	s_addc_u32 s3, s27, -1
	s_add_u32 s4, 0, 0x71c4fc00
	s_addc_u32 s5, 0, 0x7c
	s_mul_hi_u32 s7, s4, -9
	s_add_i32 s5, s5, 0x1c71c6a0
	s_sub_i32 s7, s7, s4
	s_mul_i32 s9, s5, -9
	s_mul_i32 s6, s4, -9
	s_add_i32 s7, s7, s9
	s_mul_hi_u32 s8, s4, s6
	s_mul_i32 s11, s4, s7
	s_mul_hi_u32 s9, s4, s7
	s_mul_hi_u32 s10, s5, s6
	s_mul_i32 s6, s5, s6
	s_add_u32 s8, s8, s11
	s_addc_u32 s9, 0, s9
	s_mul_hi_u32 s12, s5, s7
	s_add_u32 s6, s8, s6
	s_mul_i32 s7, s5, s7
	s_addc_u32 s6, s9, s10
	s_addc_u32 s8, s12, 0
	s_add_u32 s6, s6, s7
	s_delay_alu instid0(SALU_CYCLE_1) | instskip(SKIP_3) | instid1(VALU_DEP_1)
	v_add_co_u32 v1, s4, s4, s6
	s_addc_u32 s6, 0, s8
	s_cmp_lg_u32 s4, 0
	s_addc_u32 s4, s5, s6
	v_readfirstlane_b32 s5, v1
	s_mul_i32 s7, s2, s4
	s_mul_hi_u32 s6, s2, s4
	s_mul_hi_u32 s8, s3, s4
	s_mul_i32 s4, s3, s4
	s_mul_hi_u32 s9, s2, s5
	s_mul_hi_u32 s10, s3, s5
	s_mul_i32 s5, s3, s5
	s_add_u32 s7, s9, s7
	s_addc_u32 s6, 0, s6
	s_add_u32 s5, s7, s5
	s_addc_u32 s5, s6, s10
	s_addc_u32 s6, s8, 0
	s_add_u32 s4, s5, s4
	s_addc_u32 s5, 0, s6
	s_mul_i32 s7, s4, 9
	s_add_u32 s6, s4, 1
	v_sub_co_u32 v1, s2, s2, s7
	s_mul_hi_u32 s7, s4, 9
	s_addc_u32 s8, s5, 0
	s_mul_i32 s9, s5, 9
	s_delay_alu instid0(VALU_DEP_1)
	v_sub_co_u32 v2, s10, v1, 9
	s_add_u32 s11, s4, 2
	s_addc_u32 s12, s5, 0
	s_add_i32 s7, s7, s9
	s_cmp_lg_u32 s2, 0
	v_readfirstlane_b32 s2, v2
	s_subb_u32 s3, s3, s7
	s_cmp_lg_u32 s10, 0
	s_subb_u32 s7, s3, 0
	s_delay_alu instid0(VALU_DEP_1) | instskip(SKIP_4) | instid1(SALU_CYCLE_1)
	s_cmp_gt_u32 s2, 8
	s_cselect_b32 s2, -1, 0
	s_cmp_eq_u32 s7, 0
	v_readfirstlane_b32 s7, v1
	s_cselect_b32 s2, s2, -1
	s_cmp_lg_u32 s2, 0
	s_cselect_b32 s2, s11, s6
	s_cselect_b32 s6, s12, s8
	s_cmp_gt_u32 s7, 8
	s_cselect_b32 s7, -1, 0
	s_cmp_eq_u32 s3, 0
	s_cselect_b32 s3, s7, -1
	s_delay_alu instid0(SALU_CYCLE_1) | instskip(SKIP_4) | instid1(SALU_CYCLE_1)
	s_cmp_lg_u32 s3, 0
	s_cselect_b32 s2, s2, s4
	s_cselect_b32 s3, s6, s5
	s_add_u32 s34, s2, 1
	s_addc_u32 s35, s3, 0
	v_cmp_lt_u64_e64 s2, s[30:31], s[34:35]
	s_delay_alu instid0(VALU_DEP_1)
	s_and_b32 vcc_lo, exec_lo, s2
	s_mov_b64 s[2:3], 0
	s_cbranch_vccnz .LBB0_2
; %bb.1:
	v_cvt_f32_u32_e32 v1, s34
	s_sub_i32 s3, 0, s34
	s_delay_alu instid0(VALU_DEP_1) | instskip(SKIP_2) | instid1(VALU_DEP_1)
	v_rcp_iflag_f32_e32 v1, v1
	s_waitcnt_depctr 0xfff
	v_mul_f32_e32 v1, 0x4f7ffffe, v1
	v_cvt_u32_f32_e32 v1, v1
	s_delay_alu instid0(VALU_DEP_1) | instskip(NEXT) | instid1(VALU_DEP_1)
	v_readfirstlane_b32 s2, v1
	s_mul_i32 s3, s3, s2
	s_delay_alu instid0(SALU_CYCLE_1) | instskip(NEXT) | instid1(SALU_CYCLE_1)
	s_mul_hi_u32 s3, s2, s3
	s_add_i32 s2, s2, s3
	s_delay_alu instid0(SALU_CYCLE_1) | instskip(NEXT) | instid1(SALU_CYCLE_1)
	s_mul_hi_u32 s2, s30, s2
	s_mul_i32 s3, s2, s34
	s_add_i32 s4, s2, 1
	s_sub_i32 s3, s30, s3
	s_delay_alu instid0(SALU_CYCLE_1)
	s_sub_i32 s5, s3, s34
	s_cmp_ge_u32 s3, s34
	s_cselect_b32 s2, s4, s2
	s_cselect_b32 s3, s5, s3
	s_add_i32 s4, s2, 1
	s_cmp_ge_u32 s3, s34
	s_mov_b32 s3, s31
	s_cselect_b32 s2, s4, s2
.LBB0_2:
	s_load_b128 s[16:19], s[22:23], 0x0
	s_load_b128 s[8:11], s[28:29], 0x0
	s_clause 0x1
	s_load_b128 s[12:15], s[0:1], 0x8
	s_load_b64 s[24:25], s[0:1], 0x0
	s_mul_i32 s4, s2, s35
	s_mul_hi_u32 s5, s2, s34
	s_mul_i32 s6, s2, s34
	s_add_i32 s5, s5, s4
	s_sub_u32 s33, s30, s6
	s_subb_u32 s4, 0, s5
	s_waitcnt lgkmcnt(0)
	s_mul_hi_u32 s17, s33, 9
	s_mul_i32 s9, s4, 9
	s_load_b128 s[4:7], s[0:1], 0x60
	s_add_i32 s17, s17, s9
	s_mul_i32 s33, s33, 9
	s_mul_i32 s0, s18, s17
	s_mul_hi_u32 s1, s18, s33
	v_cmp_lt_u64_e64 s39, s[14:15], 3
	s_mul_i32 s36, s10, s17
	s_mul_hi_u32 s37, s10, s33
	s_mul_i32 s9, s19, s33
	s_mul_i32 s38, s11, s33
	s_add_i32 s0, s1, s0
	s_add_i32 s1, s37, s36
	;; [unrolled: 1-line block ×3, first 2 shown]
	s_mul_i32 s11, s18, s33
	s_add_i32 s47, s1, s38
	s_and_b32 vcc_lo, exec_lo, s39
	s_mul_i32 s9, s10, s33
	s_cbranch_vccnz .LBB0_12
; %bb.3:
	s_add_u32 s0, s28, 16
	s_addc_u32 s1, s29, 0
	s_add_u32 s36, s22, 16
	s_addc_u32 s37, s23, 0
	;; [unrolled: 2-line block ×3, first 2 shown]
	s_mov_b64 s[38:39], 2
	s_mov_b32 s40, 0
.LBB0_4:                                ; =>This Inner Loop Header: Depth=1
	s_load_b64 s[42:43], s[20:21], 0x0
	s_waitcnt lgkmcnt(0)
	s_or_b64 s[44:45], s[2:3], s[42:43]
	s_delay_alu instid0(SALU_CYCLE_1) | instskip(NEXT) | instid1(SALU_CYCLE_1)
	s_mov_b32 s41, s45
                                        ; implicit-def: $sgpr44_sgpr45
	s_cmp_lg_u64 s[40:41], 0
	s_mov_b32 s41, -1
	s_cbranch_scc0 .LBB0_6
; %bb.5:                                ;   in Loop: Header=BB0_4 Depth=1
	v_cvt_f32_u32_e32 v1, s42
	v_cvt_f32_u32_e32 v2, s43
	s_sub_u32 s45, 0, s42
	s_subb_u32 s48, 0, s43
	s_delay_alu instid0(VALU_DEP_1) | instskip(NEXT) | instid1(VALU_DEP_1)
	v_fmac_f32_e32 v1, 0x4f800000, v2
	v_rcp_f32_e32 v1, v1
	s_waitcnt_depctr 0xfff
	v_mul_f32_e32 v1, 0x5f7ffffc, v1
	s_delay_alu instid0(VALU_DEP_1) | instskip(NEXT) | instid1(VALU_DEP_1)
	v_mul_f32_e32 v2, 0x2f800000, v1
	v_trunc_f32_e32 v2, v2
	s_delay_alu instid0(VALU_DEP_1) | instskip(SKIP_1) | instid1(VALU_DEP_2)
	v_fmac_f32_e32 v1, 0xcf800000, v2
	v_cvt_u32_f32_e32 v2, v2
	v_cvt_u32_f32_e32 v1, v1
	s_delay_alu instid0(VALU_DEP_2) | instskip(NEXT) | instid1(VALU_DEP_2)
	v_readfirstlane_b32 s41, v2
	v_readfirstlane_b32 s44, v1
	s_delay_alu instid0(VALU_DEP_2) | instskip(NEXT) | instid1(VALU_DEP_1)
	s_mul_i32 s49, s45, s41
	s_mul_hi_u32 s51, s45, s44
	s_mul_i32 s50, s48, s44
	s_add_i32 s49, s51, s49
	s_mul_i32 s52, s45, s44
	s_add_i32 s49, s49, s50
	s_mul_hi_u32 s51, s44, s52
	s_mul_hi_u32 s53, s41, s52
	s_mul_i32 s50, s41, s52
	s_mul_hi_u32 s52, s44, s49
	s_mul_i32 s44, s44, s49
	s_mul_hi_u32 s54, s41, s49
	s_add_u32 s44, s51, s44
	s_addc_u32 s51, 0, s52
	s_add_u32 s44, s44, s50
	s_mul_i32 s49, s41, s49
	s_addc_u32 s44, s51, s53
	s_addc_u32 s50, s54, 0
	s_add_u32 s44, s44, s49
	s_addc_u32 s49, 0, s50
	v_add_co_u32 v1, s44, v1, s44
	s_delay_alu instid0(VALU_DEP_1) | instskip(SKIP_1) | instid1(VALU_DEP_1)
	s_cmp_lg_u32 s44, 0
	s_addc_u32 s41, s41, s49
	v_readfirstlane_b32 s44, v1
	s_mul_i32 s49, s45, s41
	s_delay_alu instid0(VALU_DEP_1)
	s_mul_hi_u32 s50, s45, s44
	s_mul_i32 s48, s48, s44
	s_add_i32 s49, s50, s49
	s_mul_i32 s45, s45, s44
	s_add_i32 s49, s49, s48
	s_mul_hi_u32 s50, s41, s45
	s_mul_i32 s51, s41, s45
	s_mul_hi_u32 s45, s44, s45
	s_mul_hi_u32 s52, s44, s49
	s_mul_i32 s44, s44, s49
	s_mul_hi_u32 s48, s41, s49
	s_add_u32 s44, s45, s44
	s_addc_u32 s45, 0, s52
	s_add_u32 s44, s44, s51
	s_mul_i32 s49, s41, s49
	s_addc_u32 s44, s45, s50
	s_addc_u32 s45, s48, 0
	s_add_u32 s44, s44, s49
	s_addc_u32 s45, 0, s45
	v_add_co_u32 v1, s44, v1, s44
	s_delay_alu instid0(VALU_DEP_1) | instskip(SKIP_1) | instid1(VALU_DEP_1)
	s_cmp_lg_u32 s44, 0
	s_addc_u32 s41, s41, s45
	v_readfirstlane_b32 s44, v1
	s_mul_i32 s48, s2, s41
	s_mul_hi_u32 s45, s2, s41
	s_mul_hi_u32 s49, s3, s41
	s_mul_i32 s41, s3, s41
	s_mul_hi_u32 s50, s2, s44
	s_mul_hi_u32 s51, s3, s44
	s_mul_i32 s44, s3, s44
	s_add_u32 s48, s50, s48
	s_addc_u32 s45, 0, s45
	s_add_u32 s44, s48, s44
	s_addc_u32 s44, s45, s51
	s_addc_u32 s45, s49, 0
	s_add_u32 s44, s44, s41
	s_addc_u32 s45, 0, s45
	s_mul_hi_u32 s41, s42, s44
	s_mul_i32 s49, s42, s45
	s_mul_i32 s50, s42, s44
	s_add_i32 s41, s41, s49
	v_sub_co_u32 v1, s49, s2, s50
	s_mul_i32 s48, s43, s44
	s_delay_alu instid0(SALU_CYCLE_1) | instskip(NEXT) | instid1(VALU_DEP_1)
	s_add_i32 s41, s41, s48
	v_sub_co_u32 v2, s50, v1, s42
	s_sub_i32 s48, s3, s41
	s_cmp_lg_u32 s49, 0
	s_subb_u32 s48, s48, s43
	s_cmp_lg_u32 s50, 0
	v_readfirstlane_b32 s50, v2
	s_subb_u32 s48, s48, 0
	s_delay_alu instid0(SALU_CYCLE_1) | instskip(SKIP_1) | instid1(VALU_DEP_1)
	s_cmp_ge_u32 s48, s43
	s_cselect_b32 s51, -1, 0
	s_cmp_ge_u32 s50, s42
	s_cselect_b32 s50, -1, 0
	s_cmp_eq_u32 s48, s43
	s_cselect_b32 s48, s50, s51
	s_add_u32 s50, s44, 1
	s_addc_u32 s51, s45, 0
	s_add_u32 s52, s44, 2
	s_addc_u32 s53, s45, 0
	s_cmp_lg_u32 s48, 0
	s_cselect_b32 s48, s52, s50
	s_cselect_b32 s50, s53, s51
	s_cmp_lg_u32 s49, 0
	v_readfirstlane_b32 s49, v1
	s_subb_u32 s41, s3, s41
	s_delay_alu instid0(SALU_CYCLE_1) | instskip(SKIP_1) | instid1(VALU_DEP_1)
	s_cmp_ge_u32 s41, s43
	s_cselect_b32 s51, -1, 0
	s_cmp_ge_u32 s49, s42
	s_cselect_b32 s49, -1, 0
	s_cmp_eq_u32 s41, s43
	s_cselect_b32 s41, s49, s51
	s_delay_alu instid0(SALU_CYCLE_1)
	s_cmp_lg_u32 s41, 0
	s_mov_b32 s41, 0
	s_cselect_b32 s45, s50, s45
	s_cselect_b32 s44, s48, s44
.LBB0_6:                                ;   in Loop: Header=BB0_4 Depth=1
	s_and_not1_b32 vcc_lo, exec_lo, s41
	s_cbranch_vccnz .LBB0_8
; %bb.7:                                ;   in Loop: Header=BB0_4 Depth=1
	v_cvt_f32_u32_e32 v1, s42
	s_sub_i32 s44, 0, s42
	s_waitcnt_depctr 0xfff
	v_rcp_iflag_f32_e32 v1, v1
	s_waitcnt_depctr 0xfff
	v_mul_f32_e32 v1, 0x4f7ffffe, v1
	s_delay_alu instid0(VALU_DEP_1) | instskip(NEXT) | instid1(VALU_DEP_1)
	v_cvt_u32_f32_e32 v1, v1
	v_readfirstlane_b32 s41, v1
	s_delay_alu instid0(VALU_DEP_1) | instskip(NEXT) | instid1(SALU_CYCLE_1)
	s_mul_i32 s44, s44, s41
	s_mul_hi_u32 s44, s41, s44
	s_delay_alu instid0(SALU_CYCLE_1) | instskip(NEXT) | instid1(SALU_CYCLE_1)
	s_add_i32 s41, s41, s44
	s_mul_hi_u32 s41, s2, s41
	s_delay_alu instid0(SALU_CYCLE_1) | instskip(SKIP_2) | instid1(SALU_CYCLE_1)
	s_mul_i32 s44, s41, s42
	s_add_i32 s45, s41, 1
	s_sub_i32 s44, s2, s44
	s_sub_i32 s48, s44, s42
	s_cmp_ge_u32 s44, s42
	s_cselect_b32 s41, s45, s41
	s_cselect_b32 s44, s48, s44
	s_add_i32 s45, s41, 1
	s_cmp_ge_u32 s44, s42
	s_cselect_b32 s44, s45, s41
	s_mov_b32 s45, s40
.LBB0_8:                                ;   in Loop: Header=BB0_4 Depth=1
	s_load_b64 s[48:49], s[36:37], 0x0
	s_load_b64 s[50:51], s[0:1], 0x0
	s_mul_i32 s35, s42, s35
	s_mul_hi_u32 s41, s42, s34
	s_mul_i32 s52, s43, s34
	s_mul_i32 s43, s44, s43
	s_mul_hi_u32 s53, s44, s42
	s_mul_i32 s54, s45, s42
	s_add_i32 s35, s41, s35
	s_add_i32 s41, s53, s43
	s_mul_i32 s55, s44, s42
	s_add_i32 s35, s35, s52
	s_add_i32 s41, s41, s54
	s_sub_u32 s2, s2, s55
	s_subb_u32 s3, s3, s41
	s_mul_i32 s34, s42, s34
	s_waitcnt lgkmcnt(0)
	s_mul_i32 s41, s48, s3
	s_mul_hi_u32 s43, s48, s2
	s_mul_i32 s49, s49, s2
	s_add_i32 s41, s43, s41
	s_mul_i32 s48, s48, s2
	s_mul_i32 s3, s50, s3
	s_mul_hi_u32 s43, s50, s2
	s_add_i32 s41, s41, s49
	s_add_u32 s11, s48, s11
	s_addc_u32 s46, s41, s46
	s_add_i32 s3, s43, s3
	s_mul_i32 s41, s51, s2
	s_mul_i32 s2, s50, s2
	s_add_i32 s3, s3, s41
	s_add_u32 s9, s2, s9
	s_addc_u32 s47, s3, s47
	s_add_u32 s38, s38, 1
	s_addc_u32 s39, s39, 0
	s_add_u32 s0, s0, 8
	v_cmp_ge_u64_e64 s2, s[38:39], s[14:15]
	s_addc_u32 s1, s1, 0
	s_add_u32 s36, s36, 8
	s_addc_u32 s37, s37, 0
	s_add_u32 s20, s20, 8
	s_addc_u32 s21, s21, 0
	s_and_b32 vcc_lo, exec_lo, s2
	s_cbranch_vccnz .LBB0_10
; %bb.9:                                ;   in Loop: Header=BB0_4 Depth=1
	s_mov_b64 s[2:3], s[44:45]
	s_branch .LBB0_4
.LBB0_10:
	v_cmp_lt_u64_e64 s0, s[30:31], s[34:35]
	s_mov_b64 s[2:3], 0
	s_delay_alu instid0(VALU_DEP_1)
	s_and_b32 vcc_lo, exec_lo, s0
	s_cbranch_vccnz .LBB0_12
; %bb.11:
	v_cvt_f32_u32_e32 v1, s34
	s_sub_i32 s1, 0, s34
	s_delay_alu instid0(VALU_DEP_1) | instskip(SKIP_2) | instid1(VALU_DEP_1)
	v_rcp_iflag_f32_e32 v1, v1
	s_waitcnt_depctr 0xfff
	v_mul_f32_e32 v1, 0x4f7ffffe, v1
	v_cvt_u32_f32_e32 v1, v1
	s_delay_alu instid0(VALU_DEP_1) | instskip(NEXT) | instid1(VALU_DEP_1)
	v_readfirstlane_b32 s0, v1
	s_mul_i32 s1, s1, s0
	s_delay_alu instid0(SALU_CYCLE_1) | instskip(NEXT) | instid1(SALU_CYCLE_1)
	s_mul_hi_u32 s1, s0, s1
	s_add_i32 s0, s0, s1
	s_delay_alu instid0(SALU_CYCLE_1) | instskip(NEXT) | instid1(SALU_CYCLE_1)
	s_mul_hi_u32 s0, s30, s0
	s_mul_i32 s1, s0, s34
	s_add_i32 s2, s0, 1
	s_sub_i32 s1, s30, s1
	s_delay_alu instid0(SALU_CYCLE_1)
	s_sub_i32 s3, s1, s34
	s_cmp_ge_u32 s1, s34
	s_cselect_b32 s0, s2, s0
	s_cselect_b32 s1, s3, s1
	s_add_i32 s2, s0, 1
	s_cmp_ge_u32 s1, s34
	s_cselect_b32 s2, s2, s0
.LBB0_12:
	v_mul_u32_u24_e32 v1, 0x1c72, v0
	s_lshl_b64 s[14:15], s[14:15], 3
	v_mov_b32_e32 v51, 0
	s_add_u32 s0, s22, s14
	s_addc_u32 s1, s23, s15
	v_lshrrev_b32_e32 v71, 16, v1
	s_load_b64 s[0:1], s[0:1], 0x0
	v_mov_b32_e32 v52, 0
	s_delay_alu instid0(VALU_DEP_2) | instskip(NEXT) | instid1(VALU_DEP_1)
	v_mul_lo_u16 v1, v71, 9
	v_sub_nc_u16 v1, v0, v1
	s_delay_alu instid0(VALU_DEP_1) | instskip(NEXT) | instid1(VALU_DEP_1)
	v_and_b32_e32 v126, 0xffff, v1
	v_mad_u64_u32 v[53:54], null, s18, v126, 0
	s_waitcnt lgkmcnt(0)
	s_mul_i32 s0, s0, s2
	s_delay_alu instid0(VALU_DEP_1) | instskip(SKIP_1) | instid1(VALU_DEP_1)
	v_mov_b32_e32 v1, v54
	v_add_co_u32 v127, s1, s33, v126
	v_add_co_ci_u32_e64 v128, null, s17, 0, s1
	s_add_u32 s1, s0, s11
	s_add_u32 s14, s28, s14
	s_addc_u32 s15, s29, s15
	s_add_u32 s20, s33, 9
	s_addc_u32 s21, s17, 0
	v_cmp_gt_u64_e32 vcc_lo, s[26:27], v[127:128]
	v_cmp_le_u64_e64 s3, s[20:21], s[26:27]
	v_mad_u64_u32 v[2:3], null, s19, v126, v[1:2]
	v_dual_mov_b32 v3, v51 :: v_dual_mov_b32 v4, v52
	v_dual_mov_b32 v1, v51 :: v_dual_mov_b32 v2, v52
	s_delay_alu instid0(VALU_DEP_4) | instskip(NEXT) | instid1(SALU_CYCLE_1)
	s_or_b32 s11, s3, vcc_lo
	s_and_saveexec_b32 s17, s11
	s_cbranch_execz .LBB0_14
; %bb.13:
	v_mul_lo_u32 v1, s16, v71
	v_mov_b32_e32 v2, 0
	s_delay_alu instid0(VALU_DEP_2) | instskip(NEXT) | instid1(VALU_DEP_1)
	v_add3_u32 v1, s1, v53, v1
	v_lshlrev_b64 v[1:2], 4, v[1:2]
	s_delay_alu instid0(VALU_DEP_1) | instskip(NEXT) | instid1(VALU_DEP_1)
	v_add_co_u32 v1, s0, s4, v1
	v_add_co_ci_u32_e64 v2, s0, s5, v2, s0
	global_load_b128 v[1:4], v[1:2], off
.LBB0_14:
	s_or_b32 exec_lo, exec_lo, s17
	v_dual_mov_b32 v49, v51 :: v_dual_mov_b32 v50, v52
	s_and_saveexec_b32 s17, s11
	s_cbranch_execz .LBB0_16
; %bb.15:
	v_dual_mov_b32 v6, 0 :: v_dual_add_nc_u32 v5, 16, v71
	s_delay_alu instid0(VALU_DEP_1) | instskip(NEXT) | instid1(VALU_DEP_1)
	v_mul_lo_u32 v5, s16, v5
	v_add3_u32 v5, s1, v53, v5
	s_delay_alu instid0(VALU_DEP_1) | instskip(NEXT) | instid1(VALU_DEP_1)
	v_lshlrev_b64 v[5:6], 4, v[5:6]
	v_add_co_u32 v5, s0, s4, v5
	s_delay_alu instid0(VALU_DEP_1)
	v_add_co_ci_u32_e64 v6, s0, s5, v6, s0
	global_load_b128 v[49:52], v[5:6], off
.LBB0_16:
	s_or_b32 exec_lo, exec_lo, s17
	v_mov_b32_e32 v39, 0
	v_mov_b32_e32 v40, 0
	s_delay_alu instid0(VALU_DEP_1)
	v_dual_mov_b32 v48, v40 :: v_dual_mov_b32 v47, v39
	v_dual_mov_b32 v46, v40 :: v_dual_mov_b32 v45, v39
	s_and_saveexec_b32 s17, s11
	s_cbranch_execz .LBB0_18
; %bb.17:
	v_or_b32_e32 v5, 32, v71
	v_mov_b32_e32 v6, 0
	s_delay_alu instid0(VALU_DEP_2) | instskip(NEXT) | instid1(VALU_DEP_1)
	v_mul_lo_u32 v5, s16, v5
	v_add3_u32 v5, s1, v53, v5
	s_delay_alu instid0(VALU_DEP_1) | instskip(NEXT) | instid1(VALU_DEP_1)
	v_lshlrev_b64 v[5:6], 4, v[5:6]
	v_add_co_u32 v5, s0, s4, v5
	s_delay_alu instid0(VALU_DEP_1)
	v_add_co_ci_u32_e64 v6, s0, s5, v6, s0
	global_load_b128 v[45:48], v[5:6], off
.LBB0_18:
	s_or_b32 exec_lo, exec_lo, s17
	v_dual_mov_b32 v37, v39 :: v_dual_mov_b32 v38, v40
	s_and_saveexec_b32 s17, s11
	s_cbranch_execz .LBB0_20
; %bb.19:
	v_dual_mov_b32 v6, 0 :: v_dual_add_nc_u32 v5, 48, v71
	s_delay_alu instid0(VALU_DEP_1) | instskip(NEXT) | instid1(VALU_DEP_1)
	v_mul_lo_u32 v5, s16, v5
	v_add3_u32 v5, s1, v53, v5
	s_delay_alu instid0(VALU_DEP_1) | instskip(NEXT) | instid1(VALU_DEP_1)
	v_lshlrev_b64 v[5:6], 4, v[5:6]
	v_add_co_u32 v5, s0, s4, v5
	s_delay_alu instid0(VALU_DEP_1)
	v_add_co_ci_u32_e64 v6, s0, s5, v6, s0
	global_load_b128 v[37:40], v[5:6], off
.LBB0_20:
	s_or_b32 exec_lo, exec_lo, s17
	v_mov_b32_e32 v35, 0
	v_mov_b32_e32 v36, 0
	s_delay_alu instid0(VALU_DEP_1)
	v_dual_mov_b32 v44, v36 :: v_dual_mov_b32 v43, v35
	v_dual_mov_b32 v42, v36 :: v_dual_mov_b32 v41, v35
	s_and_saveexec_b32 s17, s11
	s_cbranch_execz .LBB0_22
; %bb.21:
	v_or_b32_e32 v5, 64, v71
	v_mov_b32_e32 v6, 0
	s_delay_alu instid0(VALU_DEP_2) | instskip(NEXT) | instid1(VALU_DEP_1)
	v_mul_lo_u32 v5, s16, v5
	v_add3_u32 v5, s1, v53, v5
	s_delay_alu instid0(VALU_DEP_1) | instskip(NEXT) | instid1(VALU_DEP_1)
	v_lshlrev_b64 v[5:6], 4, v[5:6]
	v_add_co_u32 v5, s0, s4, v5
	s_delay_alu instid0(VALU_DEP_1)
	v_add_co_ci_u32_e64 v6, s0, s5, v6, s0
	global_load_b128 v[41:44], v[5:6], off
.LBB0_22:
	;; [unrolled: 37-line block ×5, first 2 shown]
	s_or_b32 exec_lo, exec_lo, s17
	v_dual_mov_b32 v5, v7 :: v_dual_mov_b32 v6, v8
	s_and_saveexec_b32 s17, s11
	s_cbranch_execz .LBB0_36
; %bb.35:
	v_dual_mov_b32 v6, 0 :: v_dual_add_nc_u32 v5, 0xb0, v71
	s_delay_alu instid0(VALU_DEP_1) | instskip(NEXT) | instid1(VALU_DEP_1)
	v_mul_lo_u32 v5, s16, v5
	v_add3_u32 v5, s1, v53, v5
	s_delay_alu instid0(VALU_DEP_1) | instskip(NEXT) | instid1(VALU_DEP_1)
	v_lshlrev_b64 v[5:6], 4, v[5:6]
	v_add_co_u32 v5, s0, s4, v5
	s_delay_alu instid0(VALU_DEP_1)
	v_add_co_ci_u32_e64 v6, s0, s5, v6, s0
	global_load_b128 v[5:8], v[5:6], off
.LBB0_36:
	s_or_b32 exec_lo, exec_lo, s17
	v_mov_b32_e32 v11, 0
	v_mov_b32_e32 v12, 0
	s_delay_alu instid0(VALU_DEP_1)
	v_dual_mov_b32 v9, v11 :: v_dual_mov_b32 v10, v12
	s_and_saveexec_b32 s17, s11
	s_cbranch_execz .LBB0_38
; %bb.37:
	v_or_b32_e32 v9, 0xc0, v71
	v_mov_b32_e32 v10, 0
	s_delay_alu instid0(VALU_DEP_2) | instskip(NEXT) | instid1(VALU_DEP_1)
	v_mul_lo_u32 v9, s16, v9
	v_add3_u32 v9, s1, v53, v9
	s_delay_alu instid0(VALU_DEP_1) | instskip(NEXT) | instid1(VALU_DEP_1)
	v_lshlrev_b64 v[9:10], 4, v[9:10]
	v_add_co_u32 v9, s0, s4, v9
	s_delay_alu instid0(VALU_DEP_1)
	v_add_co_ci_u32_e64 v10, s0, s5, v10, s0
	global_load_b128 v[9:12], v[9:10], off
.LBB0_38:
	s_or_b32 exec_lo, exec_lo, s17
	s_waitcnt vmcnt(0)
	v_add_f64 v[53:54], v[1:2], v[49:50]
	v_add_f64 v[55:56], v[3:4], v[51:52]
	;; [unrolled: 1-line block ×3, first 2 shown]
	v_add_f64 v[86:87], v[37:38], -v[13:14]
	v_add_f64 v[88:89], v[41:42], v[17:18]
	v_add_f64 v[67:68], v[41:42], -v[17:18]
	v_add_f64 v[61:62], v[33:34], v[25:26]
	v_add_f64 v[72:73], v[49:50], v[9:10]
	v_add_f64 v[74:75], v[49:50], -v[9:10]
	v_add_f64 v[80:81], v[45:46], v[5:6]
	v_add_f64 v[82:83], v[45:46], -v[5:6]
	v_add_f64 v[59:60], v[39:40], v[15:16]
	v_add_f64 v[65:66], v[39:40], -v[15:16]
	v_add_f64 v[63:64], v[43:44], v[19:20]
	v_add_f64 v[69:70], v[43:44], -v[19:20]
	s_mov_b32 s0, 0xe00740e9
	s_mov_b32 s16, 0x4267c47c
	;; [unrolled: 1-line block ×23, first 2 shown]
	v_add_f64 v[53:54], v[53:54], v[45:46]
	v_add_f64 v[55:56], v[55:56], v[47:48]
	v_add_f64 v[45:46], v[29:30], -v[21:22]
	s_mov_b32 s41, 0xbfedeba7
	s_mov_b32 s35, 0xbfe7f3cc
	;; [unrolled: 1-line block ×13, first 2 shown]
	v_add_f64 v[49:50], v[51:52], -v[11:12]
	v_mul_f64 v[90:91], v[72:73], s[0:1]
	v_mul_f64 v[92:93], v[72:73], s[4:5]
	;; [unrolled: 1-line block ×21, first 2 shown]
	v_add_f64 v[57:58], v[53:54], v[37:38]
	v_add_f64 v[55:56], v[55:56], v[39:40]
	;; [unrolled: 1-line block ×6, first 2 shown]
	v_add_f64 v[47:48], v[47:48], -v[7:8]
	v_mul_f64 v[132:133], v[80:81], s[34:35]
	v_mul_f64 v[134:135], v[80:81], s[18:19]
	;; [unrolled: 1-line block ×15, first 2 shown]
	v_fma_f64 v[158:159], v[49:50], s[16:17], v[90:91]
	v_fma_f64 v[90:91], v[49:50], s[38:39], v[90:91]
	;; [unrolled: 1-line block ×6, first 2 shown]
	v_mul_f64 v[156:157], v[67:68], s[40:41]
	v_fma_f64 v[182:183], v[65:66], s[28:29], v[110:111]
	v_fma_f64 v[184:185], v[59:60], s[18:19], v[112:113]
	v_fma_f64 v[112:113], v[59:60], s[18:19], -v[112:113]
	v_fma_f64 v[190:191], v[65:66], s[50:51], v[118:119]
	v_mul_f64 v[214:215], v[67:68], s[16:17]
	v_mul_f64 v[216:217], v[67:68], s[30:31]
	;; [unrolled: 1-line block ×3, first 2 shown]
	v_fma_f64 v[208:209], v[59:60], s[26:27], v[130:131]
	v_add_f64 v[76:77], v[57:58], v[41:42]
	v_add_f64 v[78:79], v[55:56], v[43:44]
	v_add_f64 v[57:58], v[33:34], -v[25:26]
	v_add_f64 v[41:42], v[35:36], -v[27:28]
	v_add_f64 v[55:56], v[29:30], v[21:22]
	v_add_f64 v[43:44], v[31:32], -v[23:24]
	v_fma_f64 v[170:171], v[53:54], s[4:5], v[98:99]
	v_fma_f64 v[98:99], v[53:54], s[4:5], -v[98:99]
	v_fma_f64 v[172:173], v[53:54], s[18:19], v[100:101]
	v_fma_f64 v[100:101], v[53:54], s[18:19], -v[100:101]
	;; [unrolled: 2-line block ×4, first 2 shown]
	v_fma_f64 v[178:179], v[53:54], s[42:43], v[74:75]
	v_fma_f64 v[180:181], v[51:52], s[4:5], v[108:109]
	;; [unrolled: 1-line block ×13, first 2 shown]
	v_fma_f64 v[138:139], v[51:52], s[18:19], -v[138:139]
	v_fma_f64 v[202:203], v[51:52], s[0:1], v[82:83]
	v_fma_f64 v[204:205], v[65:66], s[20:21], v[142:143]
	;; [unrolled: 1-line block ×4, first 2 shown]
	v_fma_f64 v[130:131], v[59:60], s[26:27], -v[130:131]
	v_fma_f64 v[210:211], v[59:60], s[0:1], v[144:145]
	v_fma_f64 v[144:145], v[59:60], s[0:1], -v[144:145]
	v_fma_f64 v[212:213], v[69:70], s[44:45], v[152:153]
	v_fma_f64 v[152:153], v[69:70], s[48:49], v[152:153]
	v_add_f64 v[158:159], v[1:2], v[158:159]
	v_add_f64 v[33:34], v[76:77], v[33:34]
	v_add_f64 v[35:36], v[78:79], v[35:36]
	v_mul_f64 v[76:77], v[72:73], s[26:27]
	v_mul_f64 v[78:79], v[72:73], s[34:35]
	v_mul_f64 v[72:73], v[72:73], s[42:43]
	v_add_f64 v[90:91], v[1:2], v[90:91]
	v_add_f64 v[160:161], v[1:2], v[160:161]
	;; [unrolled: 1-line block ×14, first 2 shown]
	v_fma_f64 v[220:221], v[63:64], s[26:27], v[156:157]
	v_fma_f64 v[156:157], v[63:64], s[26:27], -v[156:157]
	v_fma_f64 v[224:225], v[63:64], s[0:1], v[214:215]
	v_fma_f64 v[214:215], v[63:64], s[0:1], -v[214:215]
	v_fma_f64 v[226:227], v[63:64], s[18:19], v[216:217]
	v_fma_f64 v[216:217], v[63:64], s[18:19], -v[216:217]
	v_fma_f64 v[228:229], v[63:64], s[42:43], v[218:219]
	v_fma_f64 v[218:219], v[63:64], s[42:43], -v[218:219]
	v_add_f64 v[29:30], v[33:34], v[29:30]
	v_add_f64 v[31:32], v[35:36], v[31:32]
	v_mul_f64 v[33:34], v[88:89], s[18:19]
	v_mul_f64 v[35:36], v[88:89], s[42:43]
	;; [unrolled: 1-line block ×3, first 2 shown]
	v_fma_f64 v[164:165], v[49:50], s[36:37], v[76:77]
	v_fma_f64 v[76:77], v[49:50], s[40:41], v[76:77]
	;; [unrolled: 1-line block ×7, first 2 shown]
	v_fma_f64 v[96:97], v[53:54], s[0:1], -v[96:97]
	v_fma_f64 v[53:54], v[53:54], s[42:43], -v[74:75]
	v_fma_f64 v[74:75], v[47:48], s[20:21], v[106:107]
	v_fma_f64 v[106:107], v[47:48], s[22:23], v[106:107]
	v_fma_f64 v[47:48], v[47:48], s[16:17], v[80:81]
	v_fma_f64 v[80:81], v[51:52], s[4:5], -v[108:109]
	v_fma_f64 v[108:109], v[51:52], s[26:27], -v[116:117]
	;; [unrolled: 1-line block ×3, first 2 shown]
	v_add_f64 v[92:93], v[114:115], v[92:93]
	v_add_f64 v[94:95], v[122:123], v[94:95]
	;; [unrolled: 1-line block ×3, first 2 shown]
	v_mul_f64 v[122:123], v[61:62], s[18:19]
	v_mul_f64 v[114:115], v[45:46], s[46:47]
	;; [unrolled: 1-line block ×3, first 2 shown]
	v_add_f64 v[21:22], v[29:30], v[21:22]
	v_add_f64 v[23:24], v[31:32], v[23:24]
	v_fma_f64 v[29:30], v[51:52], s[42:43], v[124:125]
	v_fma_f64 v[31:32], v[65:66], s[40:41], v[128:129]
	v_fma_f64 v[124:125], v[51:52], s[34:35], v[136:137]
	v_fma_f64 v[136:137], v[51:52], s[34:35], -v[136:137]
	v_fma_f64 v[51:52], v[51:52], s[0:1], -v[82:83]
	v_fma_f64 v[82:83], v[65:66], s[30:31], v[110:111]
	v_fma_f64 v[110:111], v[65:66], s[46:47], v[118:119]
	;; [unrolled: 1-line block ×7, first 2 shown]
	v_fma_f64 v[120:121], v[59:60], s[42:43], -v[120:121]
	v_add_f64 v[72:73], v[3:4], v[72:73]
	v_add_f64 v[96:97], v[3:4], v[96:97]
	;; [unrolled: 1-line block ×9, first 2 shown]
	v_fma_f64 v[49:50], v[69:70], s[38:39], v[154:155]
	v_fma_f64 v[53:54], v[69:70], s[16:17], v[154:155]
	;; [unrolled: 1-line block ×4, first 2 shown]
	v_add_f64 v[90:91], v[106:107], v[90:91]
	v_add_f64 v[98:99], v[108:109], v[98:99]
	;; [unrolled: 1-line block ×3, first 2 shown]
	v_mul_f64 v[106:107], v[57:58], s[44:45]
	v_mul_f64 v[108:109], v[55:56], s[42:43]
	v_add_f64 v[21:22], v[21:22], v[25:26]
	v_add_f64 v[23:24], v[23:24], v[27:28]
	v_fma_f64 v[25:26], v[59:60], s[4:5], v[148:149]
	v_fma_f64 v[27:28], v[59:60], s[4:5], -v[148:149]
	v_fma_f64 v[148:149], v[59:60], s[34:35], v[86:87]
	v_fma_f64 v[59:60], v[59:60], s[34:35], -v[86:87]
	v_fma_f64 v[86:87], v[69:70], s[36:37], v[150:151]
	v_fma_f64 v[150:151], v[69:70], s[40:41], v[150:151]
	v_add_f64 v[29:30], v[29:30], v[172:173]
	v_add_f64 v[124:125], v[124:125], v[174:175]
	;; [unrolled: 1-line block ×3, first 2 shown]
	v_mul_f64 v[172:173], v[57:58], s[22:23]
	v_mul_f64 v[174:175], v[61:62], s[42:43]
	v_add_f64 v[92:93], v[110:111], v[92:93]
	v_mul_f64 v[136:137], v[45:46], s[16:17]
	v_add_f64 v[72:73], v[180:181], v[72:73]
	v_add_f64 v[80:81], v[80:81], v[96:97]
	;; [unrolled: 1-line block ×9, first 2 shown]
	v_mul_f64 v[96:97], v[61:62], s[34:35]
	v_mul_f64 v[166:167], v[61:62], s[4:5]
	v_mul_f64 v[47:48], v[57:58], s[50:51]
	v_mul_f64 v[51:52], v[57:58], s[16:17]
	v_mul_f64 v[132:133], v[55:56], s[0:1]
	v_add_f64 v[98:99], v[120:121], v[98:99]
	v_mul_f64 v[134:135], v[55:56], s[34:35]
	v_mul_f64 v[180:181], v[55:56], s[4:5]
	v_fma_f64 v[110:111], v[43:44], s[50:51], v[108:109]
	v_fma_f64 v[120:121], v[39:40], s[42:43], v[114:115]
	v_add_f64 v[17:18], v[21:22], v[17:18]
	v_add_f64 v[19:20], v[23:24], v[19:20]
	v_fma_f64 v[21:22], v[69:70], s[46:47], v[35:36]
	v_fma_f64 v[23:24], v[69:70], s[50:51], v[35:36]
	;; [unrolled: 1-line block ×4, first 2 shown]
	v_mul_f64 v[88:89], v[67:68], s[48:49]
	v_mul_f64 v[67:68], v[67:68], s[20:21]
	v_add_f64 v[29:30], v[208:209], v[29:30]
	v_add_f64 v[124:125], v[210:211], v[124:125]
	;; [unrolled: 1-line block ×5, first 2 shown]
	v_fma_f64 v[144:145], v[39:40], s[0:1], v[136:137]
	v_add_f64 v[72:73], v[184:185], v[72:73]
	v_mul_f64 v[184:185], v[45:46], s[40:41]
	v_add_f64 v[116:117], v[128:129], v[116:117]
	v_add_f64 v[76:77], v[140:141], v[76:77]
	;; [unrolled: 1-line block ×11, first 2 shown]
	v_fma_f64 v[128:129], v[41:42], s[30:31], v[122:123]
	v_fma_f64 v[122:123], v[41:42], s[28:29], v[122:123]
	;; [unrolled: 1-line block ×5, first 2 shown]
	v_fma_f64 v[47:48], v[37:38], s[42:43], -v[47:48]
	v_fma_f64 v[94:95], v[37:38], s[0:1], v[51:52]
	v_fma_f64 v[51:52], v[37:38], s[0:1], -v[51:52]
	v_fma_f64 v[140:141], v[43:44], s[38:39], v[132:133]
	v_fma_f64 v[118:119], v[39:40], s[0:1], -v[136:137]
	v_add_f64 v[13:14], v[17:18], v[13:14]
	v_add_f64 v[15:16], v[19:20], v[15:16]
	v_fma_f64 v[222:223], v[63:64], s[34:35], v[88:89]
	v_fma_f64 v[88:89], v[63:64], s[34:35], -v[88:89]
	v_fma_f64 v[230:231], v[63:64], s[4:5], v[67:68]
	v_fma_f64 v[63:64], v[63:64], s[4:5], -v[67:68]
	v_add_f64 v[67:68], v[74:75], v[158:159]
	v_add_f64 v[74:75], v[186:187], v[160:161]
	;; [unrolled: 1-line block ×6, first 2 shown]
	v_mul_f64 v[162:163], v[57:58], s[28:29]
	v_mul_f64 v[178:179], v[61:62], s[0:1]
	;; [unrolled: 1-line block ×4, first 2 shown]
	v_fma_f64 v[186:187], v[37:38], s[34:35], v[106:107]
	v_add_f64 v[72:73], v[220:221], v[72:73]
	v_add_f64 v[29:30], v[224:225], v[29:30]
	;; [unrolled: 1-line block ×13, first 2 shown]
	v_fma_f64 v[80:81], v[43:44], s[46:47], v[108:109]
	v_fma_f64 v[102:103], v[43:44], s[20:21], v[180:181]
	s_mov_b32 s1, exec_lo
	v_add_f64 v[5:6], v[13:14], v[5:6]
	v_add_f64 v[7:8], v[15:16], v[7:8]
	v_fma_f64 v[13:14], v[39:40], s[34:35], v[138:139]
	v_fma_f64 v[15:16], v[43:44], s[22:23], v[180:181]
	v_add_f64 v[88:89], v[88:89], v[98:99]
	v_add_f64 v[98:99], v[154:155], v[116:117]
	;; [unrolled: 1-line block ×9, first 2 shown]
	v_mul_f64 v[182:183], v[55:56], s[26:27]
	v_mul_f64 v[55:56], v[55:56], s[18:19]
	;; [unrolled: 1-line block ×4, first 2 shown]
	v_fma_f64 v[160:161], v[41:42], s[48:49], v[96:97]
	v_fma_f64 v[188:189], v[37:38], s[18:19], v[162:163]
	;; [unrolled: 1-line block ×10, first 2 shown]
	v_fma_f64 v[61:62], v[37:38], s[18:19], -v[162:163]
	v_fma_f64 v[78:79], v[37:38], s[26:27], v[57:58]
	v_add_f64 v[63:64], v[214:215], v[82:83]
	v_fma_f64 v[41:42], v[43:44], s[48:49], v[134:135]
	v_add_f64 v[69:70], v[186:187], v[72:73]
	;; [unrolled: 2-line block ×3, first 2 shown]
	v_add_f64 v[33:34], v[174:175], v[33:34]
	v_add_f64 v[76:77], v[47:48], v[76:77]
	;; [unrolled: 1-line block ×3, first 2 shown]
	v_fma_f64 v[100:101], v[39:40], s[26:27], -v[184:185]
	v_add_f64 v[251:252], v[5:6], v[9:10]
	v_add_f64 v[253:254], v[7:8], v[11:12]
	;; [unrolled: 1-line block ×6, first 2 shown]
	v_fma_f64 v[49:50], v[37:38], s[34:35], -v[106:107]
	v_fma_f64 v[86:87], v[37:38], s[4:5], -v[172:173]
	v_add_f64 v[25:26], v[228:229], v[25:26]
	v_fma_f64 v[37:38], v[37:38], s[26:27], -v[57:58]
	v_add_f64 v[57:58], v[230:231], v[148:149]
	v_fma_f64 v[106:107], v[43:44], s[36:37], v[182:183]
	v_fma_f64 v[108:109], v[43:44], s[40:41], v[182:183]
	;; [unrolled: 1-line block ×3, first 2 shown]
	v_add_f64 v[29:30], v[170:171], v[29:30]
	v_add_f64 v[65:66], v[96:97], v[65:66]
	;; [unrolled: 1-line block ×6, first 2 shown]
	v_fma_f64 v[17:18], v[39:40], s[26:27], v[184:185]
	v_add_f64 v[61:62], v[61:62], v[88:89]
	v_add_f64 v[88:89], v[142:143], v[98:99]
	;; [unrolled: 1-line block ×3, first 2 shown]
	v_fma_f64 v[98:99], v[39:40], s[18:19], -v[158:159]
	v_fma_f64 v[104:105], v[39:40], s[4:5], -v[45:46]
	;; [unrolled: 1-line block ×3, first 2 shown]
	v_add_f64 v[11:12], v[120:121], v[69:70]
	v_add_f64 v[33:34], v[102:103], v[33:34]
                                        ; implicit-def: $vgpr165_vgpr166
	v_add_f64 v[67:68], v[160:161], v[67:68]
	v_add_f64 v[72:73], v[128:129], v[74:75]
	v_add_f64 v[74:75], v[188:189], v[84:85]
	v_add_f64 v[31:32], v[190:191], v[31:32]
	v_fma_f64 v[84:85], v[43:44], s[44:45], v[134:135]
	v_fma_f64 v[43:44], v[43:44], s[28:29], v[55:56]
	v_add_f64 v[55:56], v[122:123], v[92:93]
	v_add_f64 v[47:48], v[94:95], v[25:26]
	v_fma_f64 v[92:93], v[39:40], s[4:5], v[45:46]
	v_add_f64 v[57:58], v[78:79], v[57:58]
	v_fma_f64 v[78:79], v[39:40], s[18:19], v[158:159]
	v_add_f64 v[94:95], v[37:38], v[3:4]
	v_add_f64 v[63:64], v[86:87], v[63:64]
	v_fma_f64 v[86:87], v[39:40], s[34:35], -v[138:139]
	v_add_f64 v[49:50], v[49:50], v[59:60]
	v_add_f64 v[39:40], v[13:14], v[29:30]
	;; [unrolled: 1-line block ×5, first 2 shown]
	s_load_b64 s[4:5], s[14:15], 0x0
                                        ; implicit-def: $vgpr2_vgpr3
	v_add_f64 v[5:6], v[15:16], v[88:89]
	v_add_f64 v[35:36], v[104:105], v[76:77]
	;; [unrolled: 1-line block ×18, first 2 shown]
	v_mad_u32_u24 v49, 0x750, v71, 0
                                        ; implicit-def: $vgpr63_vgpr64
	s_delay_alu instid0(VALU_DEP_1)
	v_lshl_add_u32 v1, v126, 4, v49
	ds_store_b128 v1, v[25:28] offset:288
	ds_store_b128 v1, v[37:40] offset:432
	;; [unrolled: 1-line block ×9, first 2 shown]
	ds_store_b128 v1, v[251:254]
	ds_store_b128 v1, v[41:44] offset:1440
	ds_store_b128 v1, v[53:56] offset:1584
	;; [unrolled: 1-line block ×3, first 2 shown]
	s_waitcnt lgkmcnt(0)
	s_barrier
	buffer_gl0_inv
	scratch_store_b128 off, v[0:3], off     ; 16-byte Folded Spill
	v_cmpx_gt_u32_e32 0x75, v0
	s_cbranch_execz .LBB0_40
; %bb.39:
	v_mul_i32_i24_e32 v1, 0xfffff940, v71
	v_lshlrev_b32_e32 v2, 4, v126
	s_delay_alu instid0(VALU_DEP_1)
	v_add3_u32 v1, v49, v1, v2
	ds_load_b128 v[251:254], v1
	ds_load_b128 v[9:12], v1 offset:1872
	ds_load_b128 v[25:28], v1 offset:3744
	;; [unrolled: 1-line block ×13, first 2 shown]
	s_waitcnt lgkmcnt(0)
	scratch_store_b128 off, v[49:52], off   ; 16-byte Folded Spill
	ds_load_b128 v[163:166], v1 offset:26208
	ds_load_b128 v[61:64], v1 offset:28080
.LBB0_40:
	s_or_b32 exec_lo, exec_lo, s1
	v_cmp_gt_u32_e64 s1, 0x75, v0
	v_cmp_lt_u32_e64 s0, 0x74, v0
	v_cndmask_b32_e64 v2, 0, 1, vcc_lo
	s_delay_alu instid0(VALU_DEP_3) | instskip(NEXT) | instid1(VALU_DEP_3)
	v_cndmask_b32_e64 v1, 0, 1, s1
	s_or_b32 vcc_lo, s0, s3
	s_mov_b32 s0, exec_lo
	s_delay_alu instid0(VALU_DEP_1) | instskip(NEXT) | instid1(VALU_DEP_1)
	v_cndmask_b32_e32 v1, v2, v1, vcc_lo
	v_and_b32_e32 v1, 1, v1
	s_delay_alu instid0(VALU_DEP_1)
	v_cmpx_eq_u32_e32 1, v1
	s_cbranch_execz .LBB0_42
; %bb.41:
	v_mul_lo_u16 v1, v71, 20
	s_movk_i32 s0, 0x1000
	s_movk_i32 s1, 0xff0
	v_and_b32_e32 v0, 0xffff, v0
	s_mov_b32 s15, 0xbfe6a09e
	v_lshrrev_b16 v1, 8, v1
	s_mov_b32 s11, 0xbfed906b
	s_delay_alu instid0(VALU_DEP_2) | instskip(NEXT) | instid1(VALU_DEP_2)
	v_mul_u32_u24_e32 v0, 0x231, v0
	v_mul_lo_u16 v1, v1, 13
	s_delay_alu instid0(VALU_DEP_2) | instskip(NEXT) | instid1(VALU_DEP_2)
	v_lshrrev_b32_e32 v0, 16, v0
	v_sub_nc_u16 v1, v71, v1
	s_delay_alu instid0(VALU_DEP_1) | instskip(NEXT) | instid1(VALU_DEP_1)
	v_and_b32_e32 v148, 0xff, v1
	v_mul_u32_u24_e32 v1, 15, v148
	v_add_nc_u32_e32 v2, 0xc3, v148
	s_delay_alu instid0(VALU_DEP_2) | instskip(SKIP_1) | instid1(VALU_DEP_3)
	v_lshlrev_b32_e32 v121, 4, v1
	v_mul_lo_u32 v1, v127, v148
	v_mul_lo_u32 v2, v127, v2
	s_clause 0xe
	global_load_b128 v[81:84], v121, s[24:25] offset:32
	global_load_b128 v[101:104], v121, s[24:25] offset:160
	;; [unrolled: 1-line block ×8, first 2 shown]
	global_load_b128 v[89:92], v121, s[24:25]
	global_load_b128 v[85:88], v121, s[24:25] offset:128
	global_load_b128 v[73:76], v121, s[24:25] offset:64
	global_load_b128 v[77:80], v121, s[24:25] offset:192
	global_load_b128 v[49:52], v121, s[24:25] offset:112
	global_load_b128 v[65:68], v121, s[24:25] offset:48
	global_load_b128 v[128:131], v121, s[24:25] offset:176
	v_and_b32_e32 v3, 0xff, v1
	v_lshrrev_b32_e32 v4, 4, v1
	v_and_b32_e32 v69, 0xff, v2
	v_lshrrev_b32_e32 v70, 4, v2
	v_lshrrev_b32_e32 v2, 12, v2
	v_lshlrev_b32_e32 v3, 4, v3
	v_and_or_b32 v4, 0xff0, v4, s0
	v_lshrrev_b32_e32 v1, 12, v1
	s_clause 0x1
	global_load_b128 v[132:135], v3, s[12:13]
	global_load_b128 v[136:139], v4, s[12:13]
	v_lshlrev_b32_e32 v3, 4, v69
	v_and_or_b32 v4, 0xff0, v70, s0
	v_add_nc_u32_e32 v69, 0x9c, v148
	s_clause 0x1
	global_load_b128 v[140:143], v3, s[12:13]
	global_load_b128 v[149:152], v4, s[12:13]
	v_add_nc_u32_e32 v3, 0xb6, v148
	v_add_nc_u32_e32 v4, 0xa9, v148
	v_mul_lo_u32 v57, v127, v69
	v_and_or_b32 v2, v2, s1, 0x2000
	v_and_or_b32 v1, v1, s1, 0x2000
	v_mul_lo_u32 v70, v127, v3
	v_mul_lo_u32 v255, v127, v4
	v_and_b32_e32 v60, 0xff, v57
	v_lshrrev_b32_e32 v69, 4, v57
	s_delay_alu instid0(VALU_DEP_4) | instskip(SKIP_3) | instid1(VALU_DEP_4)
	v_and_b32_e32 v3, 0xff, v70
	v_lshrrev_b32_e32 v4, 4, v70
	v_and_b32_e32 v58, 0xff, v255
	v_lshrrev_b32_e32 v59, 4, v255
	v_lshlrev_b32_e32 v3, 4, v3
	s_delay_alu instid0(VALU_DEP_4) | instskip(NEXT) | instid1(VALU_DEP_4)
	v_and_or_b32 v4, 0xff0, v4, s0
	v_lshlrev_b32_e32 v58, 4, v58
	s_delay_alu instid0(VALU_DEP_4)
	v_and_or_b32 v59, 0xff0, v59, s0
	s_clause 0x1
	global_load_b128 v[173:176], v3, s[12:13]
	global_load_b128 v[177:180], v4, s[12:13]
	v_lshlrev_b32_e32 v3, 4, v60
	v_and_or_b32 v4, 0xff0, v69, s0
	s_clause 0x3
	global_load_b128 v[181:184], v58, s[12:13]
	global_load_b128 v[185:188], v59, s[12:13]
	;; [unrolled: 1-line block ×4, first 2 shown]
	v_add_nc_u32_e32 v3, 0x8f, v148
	v_add_nc_u32_e32 v4, 0x82, v148
	;; [unrolled: 1-line block ×3, first 2 shown]
	s_delay_alu instid0(VALU_DEP_3) | instskip(NEXT) | instid1(VALU_DEP_3)
	v_mul_lo_u32 v167, v127, v3
	v_mul_lo_u32 v168, v127, v4
	s_delay_alu instid0(VALU_DEP_3) | instskip(NEXT) | instid1(VALU_DEP_3)
	v_mul_lo_u32 v171, v127, v58
	v_and_b32_e32 v3, 0xff, v167
	v_lshrrev_b32_e32 v4, 4, v167
	s_delay_alu instid0(VALU_DEP_4)
	v_and_b32_e32 v58, 0xff, v168
	v_lshrrev_b32_e32 v59, 4, v168
	v_and_b32_e32 v60, 0xff, v171
	v_lshlrev_b32_e32 v3, 4, v3
	v_and_or_b32 v4, 0xff0, v4, s0
	v_lshrrev_b32_e32 v69, 4, v171
	v_lshlrev_b32_e32 v58, 4, v58
	v_and_or_b32 v59, 0xff0, v59, s0
	s_clause 0x1
	global_load_b128 v[197:200], v3, s[12:13]
	global_load_b128 v[201:204], v4, s[12:13]
	v_lshlrev_b32_e32 v3, 4, v60
	v_and_or_b32 v4, 0xff0, v69, s0
	s_clause 0x3
	global_load_b128 v[205:208], v58, s[12:13]
	global_load_b128 v[209:212], v59, s[12:13]
	;; [unrolled: 1-line block ×4, first 2 shown]
	v_add_nc_u32_e32 v3, 0x68, v148
	v_add_nc_u32_e32 v58, 0x41, v148
	s_delay_alu instid0(VALU_DEP_2) | instskip(NEXT) | instid1(VALU_DEP_2)
	v_mul_lo_u32 v172, v127, v3
	v_mul_lo_u32 v245, v127, v58
	s_delay_alu instid0(VALU_DEP_2) | instskip(SKIP_1) | instid1(VALU_DEP_3)
	v_and_b32_e32 v3, 0xff, v172
	v_lshrrev_b32_e32 v4, 4, v172
	v_and_b32_e32 v60, 0xff, v245
	v_lshrrev_b32_e32 v69, 4, v245
	s_delay_alu instid0(VALU_DEP_4) | instskip(NEXT) | instid1(VALU_DEP_4)
	v_lshlrev_b32_e32 v3, 4, v3
	v_and_or_b32 v4, 0xff0, v4, s0
	s_clause 0x1
	global_load_b128 v[221:224], v3, s[12:13]
	global_load_b128 v[225:228], v4, s[12:13]
	v_add_nc_u32_e32 v3, 0x5b, v148
	v_add_nc_u32_e32 v4, 0x4e, v148
	s_delay_alu instid0(VALU_DEP_2) | instskip(NEXT) | instid1(VALU_DEP_2)
	v_mul_lo_u32 v157, v127, v3
	v_mul_lo_u32 v160, v127, v4
	s_delay_alu instid0(VALU_DEP_2) | instskip(SKIP_1) | instid1(VALU_DEP_3)
	v_and_b32_e32 v3, 0xff, v157
	v_lshrrev_b32_e32 v4, 4, v157
	v_and_b32_e32 v58, 0xff, v160
	v_lshrrev_b32_e32 v59, 4, v160
	s_delay_alu instid0(VALU_DEP_4) | instskip(NEXT) | instid1(VALU_DEP_4)
	v_lshlrev_b32_e32 v3, 4, v3
	v_and_or_b32 v4, 0xff0, v4, s0
	s_delay_alu instid0(VALU_DEP_4) | instskip(NEXT) | instid1(VALU_DEP_4)
	v_lshlrev_b32_e32 v58, 4, v58
	v_and_or_b32 v59, 0xff0, v59, s0
	s_waitcnt vmcnt(32)
	v_mul_f64 v[121:122], v[39:40], v[83:84]
	v_mul_f64 v[83:84], v[37:38], v[83:84]
	s_waitcnt vmcnt(31)
	v_mul_f64 v[123:124], v[55:56], v[103:104]
	v_mul_f64 v[103:104], v[53:54], v[103:104]
	s_waitcnt vmcnt(29) lgkmcnt(0)
	v_mul_f64 v[161:162], v[63:64], v[119:120]
	v_mul_f64 v[144:145], v[61:62], v[119:120]
	v_fma_f64 v[37:38], v[37:38], v[81:82], -v[121:122]
	s_delay_alu instid0(VALU_DEP_2)
	v_fma_f64 v[158:159], v[63:64], v[117:118], v[144:145]
	scratch_store_b64 off, v[37:38], off offset:52 ; 8-byte Folded Spill
	v_fma_f64 v[37:38], v[39:40], v[81:82], v[83:84]
	scratch_store_b32 off, v126, off offset:32 ; 4-byte Folded Spill
	v_mul_f64 v[125:126], v[45:46], v[111:112]
	v_mul_f64 v[111:112], v[47:48], v[111:112]
	s_waitcnt vmcnt(28)
	v_mul_f64 v[39:40], v[25:26], v[115:116]
	scratch_store_b64 off, v[37:38], off offset:36 ; 8-byte Folded Spill
	s_clause 0x1
	global_load_b128 v[229:232], v3, s[12:13]
	global_load_b128 v[233:236], v4, s[12:13]
	v_fma_f64 v[3:4], v[53:54], v[101:102], -v[123:124]
	v_fma_f64 v[47:48], v[47:48], v[109:110], v[125:126]
	v_fma_f64 v[45:46], v[45:46], v[109:110], -v[111:112]
	v_mul_f64 v[37:38], v[27:28], v[115:116]
	v_fma_f64 v[155:156], v[27:28], v[113:114], v[39:40]
	s_waitcnt vmcnt(28)
	v_mul_f64 v[53:54], v[29:30], v[99:100]
	s_waitcnt vmcnt(27)
	v_mul_f64 v[27:28], v[165:166], v[95:96]
	scratch_store_b64 off, v[3:4], off offset:68 ; 8-byte Folded Spill
	v_fma_f64 v[3:4], v[55:56], v[101:102], v[103:104]
	v_mul_f64 v[55:56], v[31:32], v[99:100]
	v_fma_f64 v[169:170], v[25:26], v[113:114], -v[37:38]
	v_mul_f64 v[25:26], v[163:164], v[95:96]
	scratch_store_b64 off, v[3:4], off offset:44 ; 8-byte Folded Spill
	v_lshlrev_b32_e32 v3, 4, v60
	v_and_or_b32 v4, 0xff0, v69, s0
	s_clause 0x1
	global_load_b128 v[237:240], v58, s[12:13]
	global_load_b128 v[241:244], v59, s[12:13]
	s_clause 0x1
	scratch_store_b64 off, v[47:48], off offset:84
	scratch_store_b64 off, v[45:46], off offset:60
	s_clause 0x1
	global_load_b128 v[119:122], v3, s[12:13]
	global_load_b128 v[123:126], v4, s[12:13]
	v_fma_f64 v[3:4], v[61:62], v[117:118], -v[161:162]
	v_mul_f64 v[45:46], v[43:44], v[107:108]
	v_mul_f64 v[47:48], v[41:42], v[107:108]
	v_add_nc_u32_e32 v58, 52, v148
	v_add_nc_u32_e32 v59, 39, v148
	v_fma_f64 v[161:162], v[31:32], v[97:98], v[53:54]
	v_fma_f64 v[117:118], v[29:30], v[97:98], -v[55:56]
	s_waitcnt vmcnt(30)
	v_mul_f64 v[29:30], v[11:12], v[91:92]
	v_mul_lo_u32 v250, v127, v58
	v_mul_lo_u32 v246, v127, v59
	v_mul_f64 v[31:32], v[9:10], v[91:92]
	v_fma_f64 v[91:92], v[165:166], v[93:94], v[25:26]
	v_fma_f64 v[93:94], v[163:164], v[93:94], -v[27:28]
	s_waitcnt vmcnt(29)
	v_mul_f64 v[25:26], v[35:36], v[87:88]
	v_mul_f64 v[27:28], v[33:34], v[87:88]
	v_and_b32_e32 v37, 0xff, v250
	v_lshrrev_b32_e32 v38, 4, v250
	v_and_b32_e32 v39, 0xff, v246
	v_lshrrev_b32_e32 v40, 4, v246
	s_delay_alu instid0(VALU_DEP_4) | instskip(NEXT) | instid1(VALU_DEP_4)
	v_lshlrev_b32_e32 v37, 4, v37
	v_and_or_b32 v38, 0xff0, v38, s0
	s_delay_alu instid0(VALU_DEP_4) | instskip(NEXT) | instid1(VALU_DEP_4)
	v_lshlrev_b32_e32 v39, 4, v39
	v_and_or_b32 v40, 0xff0, v40, s0
	scratch_store_b64 off, v[3:4], off offset:76 ; 8-byte Folded Spill
	v_fma_f64 v[113:114], v[41:42], v[105:106], -v[45:46]
	v_fma_f64 v[111:112], v[43:44], v[105:106], v[47:48]
	s_clause 0x2
	global_load_b128 v[103:106], v37, s[12:13]
	global_load_b128 v[107:110], v38, s[12:13]
	;; [unrolled: 1-line block ×3, first 2 shown]
	scratch_load_b128 v[42:45], off, off    ; 16-byte Folded Reload
	global_load_b128 v[95:98], v40, s[12:13]
	s_waitcnt vmcnt(33)
	v_mul_f64 v[37:38], v[13:14], v[75:76]
	v_mul_f64 v[39:40], v[15:16], v[75:76]
	v_fma_f64 v[164:165], v[9:10], v[89:90], -v[29:30]
	v_add_nc_u32_e32 v41, 26, v148
	v_fma_f64 v[3:4], v[11:12], v[89:90], v[31:32]
	s_waitcnt vmcnt(31)
	v_mul_f64 v[31:32], v[19:20], v[51:52]
	v_mul_f64 v[29:30], v[17:18], v[51:52]
	v_fma_f64 v[87:88], v[33:34], v[85:86], -v[25:26]
	v_fma_f64 v[89:90], v[35:36], v[85:86], v[27:28]
	s_waitcnt vmcnt(30)
	v_mul_f64 v[25:26], v[7:8], v[67:68]
	v_mul_f64 v[27:28], v[5:6], v[67:68]
	v_add_nc_u32_e32 v33, 13, v148
	v_mul_lo_u32 v249, v127, v41
	s_waitcnt vmcnt(13)
	v_mul_f64 v[47:48], v[213:214], v[219:220]
	v_add_f64 v[93:94], v[117:118], -v[93:94]
	v_add_f64 v[91:92], v[161:162], -v[91:92]
	v_mul_lo_u32 v163, v127, v33
	v_lshrrev_b32_e32 v33, 12, v70
	v_and_b32_e32 v34, 0xff, v249
	v_lshrrev_b32_e32 v35, 4, v249
	s_delay_alu instid0(VALU_DEP_3) | instskip(SKIP_1) | instid1(VALU_DEP_4)
	v_and_or_b32 v33, v33, s1, 0x2000
	v_and_b32_e32 v36, 0xff, v163
	v_lshlrev_b32_e32 v34, 4, v34
	s_delay_alu instid0(VALU_DEP_4) | instskip(SKIP_1) | instid1(VALU_DEP_4)
	v_and_or_b32 v35, 0xff0, v35, s0
	v_lshrrev_b32_e32 v41, 4, v163
	v_lshlrev_b32_e32 v36, 4, v36
	s_delay_alu instid0(VALU_DEP_2)
	v_and_or_b32 v41, 0xff0, v41, s0
	v_fma_f64 v[247:248], v[15:16], v[73:74], v[37:38]
	v_fma_f64 v[115:116], v[13:14], v[73:74], -v[39:40]
	v_mul_f64 v[13:14], v[134:135], v[138:139]
	v_mul_f64 v[15:16], v[132:133], v[138:139]
	v_fma_f64 v[153:154], v[17:18], v[49:50], -v[31:32]
	v_lshrrev_b32_e32 v17, 12, v255
	v_fma_f64 v[69:70], v[19:20], v[49:50], v[29:30]
	v_mul_f64 v[19:20], v[189:190], v[195:196]
	v_fma_f64 v[138:139], v[5:6], v[65:66], -v[25:26]
	v_mul_f64 v[5:6], v[142:143], v[151:152]
	v_and_or_b32 v17, v17, s1, 0x2000
	v_mul_f64 v[25:26], v[199:200], v[203:204]
	v_add_f64 v[87:88], v[164:165], -v[87:88]
	v_add_f64 v[153:154], v[251:252], -v[153:154]
	s_waitcnt vmcnt(1)
	v_mul_f64 v[9:10], v[42:43], v[79:80]
	v_mul_f64 v[11:12], v[44:45], v[79:80]
	s_clause 0x3
	global_load_b128 v[79:82], v34, s[12:13]
	global_load_b128 v[83:86], v35, s[12:13]
	;; [unrolled: 1-line block ×4, first 2 shown]
	v_mul_f64 v[35:36], v[205:206], v[211:212]
	global_load_b128 v[49:52], v33, s[12:13]
	v_mul_f64 v[33:34], v[207:208], v[211:212]
	v_mul_f64 v[211:212], v[121:122], v[125:126]
	global_load_b128 v[61:64], v17, s[12:13]
	v_fma_f64 v[144:145], v[44:45], v[77:78], v[9:10]
	v_fma_f64 v[146:147], v[42:43], v[77:78], -v[11:12]
	v_mul_f64 v[9:10], v[23:24], v[130:131]
	v_mul_f64 v[11:12], v[21:22], v[130:131]
	v_fma_f64 v[130:131], v[7:8], v[65:66], v[27:28]
	global_load_b128 v[65:68], v1, s[12:13]
	v_lshrrev_b32_e32 v2, 12, v57
	v_mul_f64 v[7:8], v[140:141], v[151:152]
	v_mul_f64 v[45:46], v[215:216], v[219:220]
	global_load_b128 v[75:78], v41, s[12:13]
	v_mul_f64 v[27:28], v[197:198], v[203:204]
	v_and_or_b32 v18, v2, s1, 0x2000
	global_load_b128 v[57:60], v18, s[12:13]
	v_mul_f64 v[17:18], v[191:192], v[195:196]
	v_fma_f64 v[151:152], v[21:22], v[128:129], -v[9:10]
	v_fma_f64 v[1:2], v[23:24], v[128:129], v[11:12]
	v_mul_f64 v[9:10], v[175:176], v[179:180]
	v_mul_f64 v[11:12], v[173:174], v[179:180]
	v_fma_f64 v[179:180], v[132:133], v[136:137], -v[13:14]
	v_fma_f64 v[13:14], v[136:137], v[134:135], v[15:16]
	v_mul_f64 v[15:16], v[181:182], v[187:188]
	v_fma_f64 v[45:46], v[213:214], v[217:218], -v[45:46]
	v_mul_f64 v[133:134], v[223:224], v[227:228]
	v_mul_f64 v[213:214], v[119:120], v[125:126]
	v_dual_mov_b32 v127, v164 :: v_dual_mov_b32 v128, v165
	v_fma_f64 v[119:120], v[119:120], v[123:124], -v[211:212]
	v_fma_f64 v[195:196], v[175:176], v[177:178], v[11:12]
	scratch_store_b64 off, v[13:14], off    ; 8-byte Folded Spill
	v_mul_f64 v[13:14], v[183:184], v[187:188]
	v_fma_f64 v[187:188], v[140:141], v[149:150], -v[5:6]
	v_fma_f64 v[5:6], v[142:143], v[149:150], v[7:8]
	v_mul_f64 v[149:150], v[221:222], v[227:228]
	v_lshrrev_b32_e32 v7, 12, v172
	v_lshrrev_b32_e32 v8, 12, v171
	v_fma_f64 v[141:142], v[173:174], v[177:178], -v[9:10]
	v_fma_f64 v[135:136], v[183:184], v[185:186], v[15:16]
	v_fma_f64 v[183:184], v[189:190], v[193:194], -v[17:18]
	v_and_or_b32 v22, v7, s1, 0x2000
	v_and_or_b32 v23, v8, s1, 0x2000
	v_lshrrev_b32_e32 v17, 12, v160
	v_lshrrev_b32_e32 v18, 12, v250
	v_fma_f64 v[177:178], v[191:192], v[193:194], v[19:20]
	v_lshrrev_b32_e32 v19, 12, v157
	v_lshrrev_b32_e32 v20, 12, v245
	v_and_or_b32 v17, v17, s1, 0x2000
	v_and_or_b32 v29, v18, s1, 0x2000
	v_fma_f64 v[189:190], v[207:208], v[209:210], v[35:36]
	v_and_or_b32 v24, v19, s1, 0x2000
	v_and_or_b32 v30, v20, s1, 0x2000
	v_fma_f64 v[191:192], v[215:216], v[217:218], v[47:48]
	v_add_f64 v[207:208], v[253:254], -v[69:70]
	v_mul_f64 v[173:174], v[231:232], v[235:236]
	v_mul_f64 v[193:194], v[229:230], v[235:236]
	v_dual_mov_b32 v236, v4 :: v_dual_mov_b32 v235, v3
	v_fma_f64 v[121:122], v[121:122], v[123:124], v[213:214]
	v_mov_b32_e32 v70, 0
	s_delay_alu instid0(VALU_DEP_3)
	v_add_f64 v[89:90], v[235:236], -v[89:90]
	v_fma_f64 v[203:204], v[181:182], v[185:186], -v[13:14]
	v_fma_f64 v[181:182], v[199:200], v[201:202], v[27:28]
	scratch_store_b64 off, v[5:6], off offset:24 ; 8-byte Folded Spill
	v_lshrrev_b32_e32 v5, 12, v168
	v_lshrrev_b32_e32 v6, 12, v167
	v_fma_f64 v[185:186], v[221:222], v[225:226], -v[133:134]
	v_fma_f64 v[133:134], v[223:224], v[225:226], v[149:150]
	v_mov_b32_e32 v227, v156
	v_and_or_b32 v5, v5, s1, 0x2000
	v_and_or_b32 v21, v6, s1, 0x2000
	s_clause 0x3
	global_load_b128 v[5:8], v5, s[12:13]
	global_load_b128 v[41:44], v21, s[12:13]
	global_load_b128 v[9:12], v22, s[12:13]
	global_load_b128 v[13:16], v23, s[12:13]
	v_lshrrev_b32_e32 v22, 12, v246
	v_lshrrev_b32_e32 v21, 12, v249
	;; [unrolled: 1-line block ×3, first 2 shown]
	v_fma_f64 v[245:246], v[197:198], v[201:202], -v[25:26]
	v_fma_f64 v[249:250], v[205:206], v[209:210], -v[33:34]
	v_and_or_b32 v38, v22, s1, 0x2000
	v_and_or_b32 v37, v21, s1, 0x2000
	;; [unrolled: 1-line block ×3, first 2 shown]
	s_clause 0x5
	global_load_b128 v[17:20], v17, s[12:13]
	global_load_b128 v[21:24], v24, s[12:13]
	;; [unrolled: 1-line block ×6, first 2 shown]
	scratch_store_b64 off, v[45:46], off offset:16 ; 8-byte Folded Spill
	global_load_b128 v[45:48], v143, s[12:13]
	s_clause 0x5
	scratch_load_b64 v[223:224], off, off offset:52
	scratch_load_b64 v[149:150], off, off offset:68
	;; [unrolled: 1-line block ×3, first 2 shown]
	scratch_load_b32 v69, off, off offset:32
	scratch_load_b64 v[167:168], off, off offset:36
	scratch_load_b64 v[125:126], off, off offset:44
	v_add_f64 v[209:210], v[138:139], -v[151:152]
	v_dual_mov_b32 v163, v169 :: v_dual_mov_b32 v164, v170
	v_mov_b32_e32 v226, v155
	v_mul_f64 v[205:206], v[237:238], v[243:244]
	v_mul_f64 v[197:198], v[239:240], v[243:244]
	v_add_f64 v[143:144], v[247:248], -v[144:145]
	v_add_f64 v[219:220], v[163:164], -v[113:114]
	;; [unrolled: 1-line block ×4, first 2 shown]
	s_mul_i32 s12, s4, s2
	s_mov_b32 s0, 0x667f3bcd
	s_add_i32 s9, s12, s9
	s_mov_b32 s1, 0x3fe6a09e
	s_mov_b32 s14, s0
	;; [unrolled: 1-line block ×8, first 2 shown]
	v_fma_f64 v[155:156], v[138:139], 2.0, -v[209:210]
	v_fma_f64 v[151:152], v[239:240], v[241:242], v[205:206]
	v_add_f64 v[213:214], v[219:220], -v[91:92]
	v_add_f64 v[205:206], v[111:112], v[93:94]
	v_add_f64 v[211:212], v[89:90], v[145:146]
	v_fma_f64 v[115:116], v[115:116], 2.0, -v[145:146]
	v_fma_f64 v[93:94], v[117:118], 2.0, -v[93:94]
	;; [unrolled: 1-line block ×5, first 2 shown]
	s_delay_alu instid0(VALU_DEP_2) | instskip(NEXT) | instid1(VALU_DEP_1)
	v_add_f64 v[93:94], v[163:164], -v[93:94]
	v_fma_f64 v[163:164], v[163:164], 2.0, -v[93:94]
	s_waitcnt vmcnt(4)
	v_add_f64 v[199:200], v[223:224], -v[149:150]
	s_waitcnt vmcnt(3)
	v_add_f64 v[201:202], v[171:172], -v[158:159]
	s_waitcnt vmcnt(2)
	v_mul_lo_u32 v175, s10, v69
	s_waitcnt vmcnt(0)
	v_add_f64 v[215:216], v[167:168], -v[125:126]
	s_clause 0x1
	scratch_load_b64 v[157:158], off, off offset:60
	scratch_load_b64 v[125:126], off, off offset:76
	v_mul_lo_u16 v69, 0xd0, v0
	v_add_f64 v[0:1], v[130:131], -v[1:2]
	scratch_load_b64 v[137:138], off, off offset:24 ; 8-byte Folded Reload
	v_fma_f64 v[149:150], v[231:232], v[233:234], v[193:194]
	v_fma_f64 v[159:160], v[253:254], 2.0, -v[207:208]
	v_and_b32_e32 v2, 0xffff, v69
	s_mov_b32 s10, s2
	s_delay_alu instid0(VALU_DEP_1)
	v_or_b32_e32 v176, v148, v2
	v_fma_f64 v[147:148], v[237:238], v[241:242], -v[197:198]
	v_add_f64 v[197:198], v[207:208], v[209:210]
	v_fma_f64 v[209:210], v[111:112], 2.0, -v[205:206]
	v_fma_f64 v[111:112], v[226:227], 2.0, -v[111:112]
	v_add_nc_u32_e32 v165, 39, v176
	v_add_nc_u32_e32 v166, 52, v176
	v_mul_lo_u32 v2, s8, v176
	v_add_nc_u32_e32 v3, 13, v176
	v_add_nc_u32_e32 v4, 26, v176
	v_mul_lo_u32 v225, s8, v165
	v_mul_lo_u32 v227, s8, v166
	v_fma_f64 v[165:166], v[219:220], 2.0, -v[213:214]
	v_add_nc_u32_e32 v231, 0x5b, v176
	v_mul_lo_u32 v4, s8, v4
	v_add3_u32 v69, v175, v2, s9
	v_mul_lo_u32 v2, s8, v3
	v_add_nc_u32_e32 v232, 0x68, v176
	v_mul_lo_u32 v231, s8, v231
	s_delay_alu instid0(VALU_DEP_2)
	v_mul_lo_u32 v232, s8, v232
	v_add_f64 v[193:194], v[199:200], -v[201:202]
	v_fma_f64 v[145:146], v[171:172], 2.0, -v[201:202]
	v_fma_f64 v[171:172], v[127:128], 2.0, -v[87:88]
	v_mul_f64 v[201:202], v[105:106], v[109:110]
	v_mul_f64 v[109:110], v[103:104], v[109:110]
	v_fma_f64 v[113:114], v[130:131], 2.0, -v[0:1]
	scratch_load_b64 v[129:130], off, off   ; 8-byte Folded Reload
	v_mul_f64 v[131:132], v[177:178], v[59:60]
	v_mul_f64 v[59:60], v[183:184], v[59:60]
	v_add_f64 v[221:222], v[153:154], -v[0:1]
	v_lshlrev_b64 v[0:1], 4, v[69:70]
	v_add3_u32 v69, v175, v2, s9
	v_fma_f64 v[207:208], v[207:208], 2.0, -v[197:198]
	s_delay_alu instid0(VALU_DEP_2) | instskip(SKIP_3) | instid1(VALU_DEP_4)
	v_lshlrev_b64 v[2:3], 4, v[69:70]
	v_add3_u32 v69, v175, v4, s9
	v_add_co_u32 v0, vcc_lo, s6, v0
	v_add_co_ci_u32_e32 v1, vcc_lo, s7, v1, vcc_lo
	v_add_co_u32 v2, vcc_lo, s6, v2
	v_add_co_ci_u32_e32 v3, vcc_lo, s7, v3, vcc_lo
	v_add_f64 v[91:92], v[111:112], -v[91:92]
	v_fma_f64 v[103:104], v[103:104], v[107:108], -v[201:202]
	v_fma_f64 v[105:106], v[105:106], v[107:108], v[109:110]
	v_fma_f64 v[107:108], v[205:206], s[0:1], v[197:198]
	v_add_f64 v[113:114], v[159:160], -v[113:114]
	v_fma_f64 v[131:132], v[57:58], v[183:184], -v[131:132]
	v_fma_f64 v[57:58], v[57:58], v[177:178], v[59:60]
	scratch_load_b64 v[177:178], off, off offset:16 ; 8-byte Folded Reload
	v_mul_f64 v[59:60], v[249:250], v[7:8]
	v_mul_f64 v[7:8], v[189:190], v[7:8]
	v_fma_f64 v[111:112], v[111:112], 2.0, -v[91:92]
	v_fma_f64 v[107:108], v[213:214], s[0:1], v[107:108]
	v_add_f64 v[93:94], v[113:114], v[93:94]
	v_fma_f64 v[159:160], v[159:160], 2.0, -v[113:114]
	s_delay_alu instid0(VALU_DEP_3) | instskip(NEXT) | instid1(VALU_DEP_3)
	v_fma_f64 v[197:198], v[197:198], 2.0, -v[107:108]
	v_fma_f64 v[113:114], v[113:114], 2.0, -v[93:94]
	s_delay_alu instid0(VALU_DEP_3)
	v_add_f64 v[111:112], v[159:160], -v[111:112]
	s_waitcnt vmcnt(3)
	v_add_f64 v[217:218], v[157:158], -v[125:126]
	v_fma_f64 v[125:126], v[229:230], v[233:234], -v[173:174]
	v_add_f64 v[173:174], v[87:88], -v[143:144]
	v_mul_f64 v[143:144], v[101:102], v[97:98]
	v_mul_f64 v[97:98], v[99:100], v[97:98]
	v_add_nc_u32_e32 v229, 0x41, v176
	v_add_nc_u32_e32 v230, 0x4e, v176
	;; [unrolled: 1-line block ×4, first 2 shown]
	s_delay_alu instid0(VALU_DEP_4) | instskip(NEXT) | instid1(VALU_DEP_4)
	v_mul_lo_u32 v4, s8, v229
	v_mul_lo_u32 v230, s8, v230
	v_add_nc_u32_e32 v229, 0x8f, v176
	v_add_f64 v[123:124], v[215:216], v[217:218]
	v_fma_f64 v[169:170], v[157:158], 2.0, -v[217:218]
	v_fma_f64 v[157:158], v[251:252], 2.0, -v[153:154]
	;; [unrolled: 1-line block ×9, first 2 shown]
	v_fma_f64 v[99:100], v[99:100], v[95:96], -v[143:144]
	v_fma_f64 v[95:96], v[101:102], v[95:96], v[97:98]
	v_add_f64 v[97:98], v[171:172], -v[115:116]
	v_fma_f64 v[219:220], v[193:194], s[0:1], v[173:174]
	v_fma_f64 v[101:102], v[209:210], s[14:15], v[207:208]
	v_add_nc_u32_e32 v235, 0x9c, v176
	v_fma_f64 v[161:162], v[215:216], 2.0, -v[123:124]
	v_lshlrev_b64 v[215:216], 4, v[69:70]
	v_add3_u32 v69, v175, v225, s9
	v_fma_f64 v[109:110], v[123:124], s[0:1], v[211:212]
	v_fma_f64 v[225:226], v[213:214], s[0:1], v[221:222]
	v_add_f64 v[115:116], v[223:224], -v[145:146]
	v_add_f64 v[145:146], v[157:158], -v[155:156]
	v_add_co_u32 v155, vcc_lo, s6, v215
	v_add_f64 v[117:118], v[167:168], -v[117:118]
	v_add_f64 v[143:144], v[199:200], -v[169:170]
	v_lshlrev_b64 v[201:202], 4, v[69:70]
	v_add3_u32 v69, v175, v227, s9
	v_fma_f64 v[227:228], v[217:218], s[14:15], v[87:88]
	v_add_co_ci_u32_e32 v156, vcc_lo, s7, v216, vcc_lo
	v_fma_f64 v[215:216], v[165:166], s[14:15], v[153:154]
	v_fma_f64 v[123:124], v[123:124], s[14:15], v[219:220]
	v_mul_f64 v[213:214], v[81:82], v[85:86]
	v_mul_f64 v[85:86], v[79:80], v[85:86]
	v_fma_f64 v[171:172], v[171:172], 2.0, -v[97:98]
	v_fma_f64 v[101:102], v[165:166], s[0:1], v[101:102]
	v_lshlrev_b64 v[219:220], 4, v[69:70]
	v_add3_u32 v69, v175, v4, s9
	v_add_co_u32 v201, vcc_lo, s6, v201
	v_add_co_ci_u32_e32 v202, vcc_lo, s7, v202, vcc_lo
	s_delay_alu instid0(VALU_DEP_3)
	v_lshlrev_b64 v[165:166], 4, v[69:70]
	v_add3_u32 v69, v175, v230, s9
	v_add_nc_u32_e32 v4, 0xa9, v176
	v_fma_f64 v[169:170], v[161:162], s[14:15], v[89:90]
	v_fma_f64 v[109:110], v[193:194], s[0:1], v[109:110]
	;; [unrolled: 1-line block ×3, first 2 shown]
	v_mul_f64 v[205:206], v[73:74], v[77:78]
	v_mul_f64 v[77:78], v[71:72], v[77:78]
	v_fma_f64 v[223:224], v[223:224], 2.0, -v[115:116]
	v_add_f64 v[115:116], v[97:98], -v[115:116]
	v_add_f64 v[91:92], v[145:146], -v[91:92]
	v_fma_f64 v[199:200], v[199:200], 2.0, -v[143:144]
	v_add_f64 v[143:144], v[117:118], v[143:144]
	v_fma_f64 v[157:158], v[157:158], 2.0, -v[145:146]
	v_fma_f64 v[167:168], v[167:168], 2.0, -v[117:118]
	v_fma_f64 v[161:162], v[161:162], s[14:15], v[227:228]
	v_mul_lo_u32 v225, s8, v233
	v_fma_f64 v[209:210], v[209:210], s[14:15], v[215:216]
	v_fma_f64 v[173:174], v[173:174], 2.0, -v[123:124]
	v_fma_f64 v[79:80], v[79:80], v[83:84], -v[213:214]
	v_fma_f64 v[81:82], v[81:82], v[83:84], v[85:86]
	s_waitcnt vmcnt(1)
	v_mul_f64 v[83:84], v[67:68], v[129:130]
	v_mul_f64 v[67:68], v[67:68], v[179:180]
	;; [unrolled: 1-line block ×4, first 2 shown]
	v_fma_f64 v[207:208], v[207:208], 2.0, -v[101:102]
	v_add_co_u32 v215, vcc_lo, s6, v219
	v_add_co_ci_u32_e32 v216, vcc_lo, s7, v220, vcc_lo
	v_mul_lo_u32 v226, s8, v234
	v_add_co_u32 v165, vcc_lo, s6, v165
	v_add_co_ci_u32_e32 v166, vcc_lo, s7, v166, vcc_lo
	v_mul_lo_u32 v227, s8, v229
	v_mul_lo_u32 v233, s8, v235
	v_fma_f64 v[169:170], v[217:218], s[0:1], v[169:170]
	v_lshlrev_b64 v[217:218], 4, v[69:70]
	v_add3_u32 v69, v175, v231, s9
	v_fma_f64 v[139:140], v[109:110], s[2:3], v[107:108]
	v_fma_f64 v[71:72], v[71:72], v[75:76], -v[205:206]
	v_fma_f64 v[73:74], v[73:74], v[75:76], v[77:78]
	v_mul_f64 v[75:76], v[137:138], v[55:56]
	v_mul_f64 v[55:56], v[187:188], v[55:56]
	;; [unrolled: 1-line block ×4, first 2 shown]
	v_fma_f64 v[205:206], v[211:212], 2.0, -v[109:110]
	v_fma_f64 v[211:212], v[221:222], 2.0, -v[193:194]
	;; [unrolled: 1-line block ×5, first 2 shown]
	v_add_f64 v[163:164], v[157:158], -v[163:164]
	v_add_f64 v[199:200], v[171:172], -v[199:200]
	;; [unrolled: 1-line block ×3, first 2 shown]
	v_fma_f64 v[87:88], v[87:88], 2.0, -v[161:162]
	v_fma_f64 v[153:154], v[153:154], 2.0, -v[209:210]
	v_lshlrev_b64 v[219:220], 4, v[69:70]
	v_add3_u32 v69, v175, v232, s9
	v_add_co_u32 v217, vcc_lo, s6, v217
	v_add_co_ci_u32_e32 v218, vcc_lo, s7, v218, vcc_lo
	s_delay_alu instid0(VALU_DEP_3) | instskip(SKIP_3) | instid1(VALU_DEP_3)
	v_lshlrev_b64 v[221:222], 4, v[69:70]
	v_add3_u32 v69, v175, v225, s9
	v_add_co_u32 v219, vcc_lo, s6, v219
	v_add_co_ci_u32_e32 v220, vcc_lo, s7, v220, vcc_lo
	v_lshlrev_b64 v[223:224], 4, v[69:70]
	v_add3_u32 v69, v175, v226, s9
	v_add_co_u32 v127, vcc_lo, s6, v221
	v_fma_f64 v[83:84], v[65:66], v[179:180], -v[83:84]
	v_fma_f64 v[89:90], v[89:90], 2.0, -v[169:170]
	v_fma_f64 v[65:66], v[65:66], v[129:130], v[67:68]
	v_fma_f64 v[67:68], v[123:124], s[2:3], v[193:194]
	v_add_co_ci_u32_e32 v128, vcc_lo, s7, v222, vcc_lo
	v_fma_f64 v[221:222], v[115:116], s[0:1], v[91:92]
	v_lshlrev_b64 v[179:180], 4, v[69:70]
	v_fma_f64 v[75:76], v[53:54], v[187:188], -v[75:76]
	v_fma_f64 v[53:54], v[53:54], v[137:138], v[55:56]
	v_add3_u32 v69, v175, v227, s9
	v_fma_f64 v[77:78], v[49:50], v[141:142], -v[77:78]
	v_fma_f64 v[129:130], v[205:206], s[12:13], v[197:198]
	v_fma_f64 v[55:56], v[173:174], s[12:13], v[211:212]
	;; [unrolled: 1-line block ×5, first 2 shown]
	v_fma_f64 v[51:52], v[159:160], 2.0, -v[111:112]
	v_fma_f64 v[141:142], v[157:158], 2.0, -v[163:164]
	;; [unrolled: 1-line block ×4, first 2 shown]
	v_fma_f64 v[85:86], v[61:62], v[203:204], -v[85:86]
	v_fma_f64 v[167:168], v[87:88], s[10:11], v[153:154]
	v_fma_f64 v[61:62], v[61:62], v[135:136], v[63:64]
	;; [unrolled: 1-line block ×5, first 2 shown]
	v_mul_f64 v[231:232], v[181:182], v[43:44]
	v_mul_f64 v[43:44], v[245:246], v[43:44]
	;; [unrolled: 1-line block ×4, first 2 shown]
	v_add_f64 v[213:214], v[163:164], -v[213:214]
	v_add_f64 v[199:200], v[111:112], v[199:200]
	v_fma_f64 v[123:124], v[123:124], s[4:5], v[139:140]
	v_mul_f64 v[11:12], v[133:134], v[11:12]
	v_mul_f64 v[23:24], v[149:150], v[23:24]
	v_mul_lo_u32 v187, s8, v4
	v_lshlrev_b64 v[229:230], 4, v[69:70]
	v_add3_u32 v69, v175, v233, s9
	v_fma_f64 v[63:64], v[89:90], s[10:11], v[207:208]
	v_add_nc_u32_e32 v233, 0xb6, v176
	v_fma_f64 v[67:68], v[109:110], s[12:13], v[67:68]
	v_mul_f64 v[109:110], v[147:148], v[19:20]
	v_mul_f64 v[19:20], v[151:152], v[19:20]
	v_fma_f64 v[143:144], v[143:144], s[14:15], v[221:222]
	v_mul_f64 v[221:222], v[119:120], v[31:32]
	v_mul_f64 v[31:32], v[121:122], v[31:32]
	v_add_nc_u32_e32 v176, 0xc3, v176
	v_mul_lo_u32 v188, s8, v233
	v_lshlrev_b64 v[183:184], 4, v[69:70]
	v_fma_f64 v[129:130], v[173:174], s[2:3], v[129:130]
	v_mul_f64 v[173:174], v[103:104], v[27:28]
	v_fma_f64 v[205:206], v[205:206], s[10:11], v[55:56]
	v_mul_f64 v[55:56], v[99:100], v[35:36]
	v_fma_f64 v[97:98], v[97:98], s[0:1], v[225:226]
	v_mul_f64 v[225:226], v[79:80], v[39:40]
	v_fma_f64 v[117:118], v[117:118], s[14:15], v[227:228]
	v_add_f64 v[157:158], v[141:142], -v[157:158]
	v_add_f64 v[159:160], v[51:52], -v[159:160]
	v_mul_f64 v[227:228], v[71:72], v[47:48]
	v_fma_f64 v[89:90], v[89:90], s[12:13], v[167:168]
	v_mul_f64 v[27:28], v[105:106], v[27:28]
	v_fma_f64 v[167:168], v[169:170], s[10:11], v[171:172]
	v_fma_f64 v[161:162], v[161:162], s[2:3], v[203:204]
	;; [unrolled: 1-line block ×3, first 2 shown]
	v_fma_f64 v[139:140], v[41:42], v[245:246], -v[231:232]
	v_fma_f64 v[41:42], v[41:42], v[181:182], v[43:44]
	v_mul_f64 v[35:36], v[95:96], v[35:36]
	v_mul_f64 v[39:40], v[81:82], v[39:40]
	v_fma_f64 v[43:44], v[5:6], v[189:190], v[59:60]
	v_mul_f64 v[47:48], v[73:74], v[47:48]
	v_fma_f64 v[59:60], v[9:10], v[133:134], v[135:136]
	v_fma_f64 v[133:134], v[21:22], v[149:150], v[137:138]
	v_fma_f64 v[135:136], v[163:164], 2.0, -v[213:214]
	v_fma_f64 v[111:112], v[111:112], 2.0, -v[199:200]
	;; [unrolled: 1-line block ×3, first 2 shown]
	v_fma_f64 v[169:170], v[5:6], v[249:250], -v[7:8]
	v_fma_f64 v[87:88], v[87:88], s[4:5], v[63:64]
	s_waitcnt vmcnt(0)
	v_mul_f64 v[63:64], v[177:178], v[15:16]
	v_mul_f64 v[15:16], v[191:192], v[15:16]
	v_fma_f64 v[109:110], v[17:18], v[151:152], v[109:110]
	v_fma_f64 v[125:126], v[21:22], v[125:126], -v[23:24]
	v_fma_f64 v[91:92], v[91:92], 2.0, -v[143:144]
	v_fma_f64 v[121:122], v[29:30], v[121:122], v[221:222]
	v_mul_f64 v[4:5], v[67:68], v[53:54]
	v_mul_lo_u32 v189, s8, v176
	v_add3_u32 v69, v175, v187, s9
	v_add_co_u32 v223, vcc_lo, s6, v223
	v_fma_f64 v[105:106], v[25:26], v[105:106], v[173:174]
	v_fma_f64 v[137:138], v[211:212], 2.0, -v[205:206]
	v_fma_f64 v[55:56], v[33:34], v[95:96], v[55:56]
	v_fma_f64 v[95:96], v[193:194], 2.0, -v[67:68]
	;; [unrolled: 2-line block ×3, first 2 shown]
	v_fma_f64 v[141:142], v[141:142], 2.0, -v[157:158]
	v_fma_f64 v[149:150], v[51:52], 2.0, -v[159:160]
	v_fma_f64 v[73:74], v[45:46], v[73:74], v[227:228]
	v_fma_f64 v[151:152], v[153:154], 2.0, -v[89:90]
	v_fma_f64 v[51:52], v[113:114], 2.0, -v[97:98]
	;; [unrolled: 1-line block ×6, first 2 shown]
	v_fma_f64 v[173:174], v[9:10], v[185:186], -v[11:12]
	v_fma_f64 v[24:25], v[25:26], v[103:104], -v[27:28]
	v_mul_f64 v[8:9], v[123:124], v[53:54]
	v_mul_f64 v[10:11], v[143:144], v[49:50]
	v_fma_f64 v[71:72], v[45:46], v[71:72], -v[47:48]
	v_mul_f64 v[22:23], v[167:168], v[61:62]
	v_mul_f64 v[26:27], v[205:206], v[41:42]
	;; [unrolled: 1-line block ×3, first 2 shown]
	v_add_co_ci_u32_e32 v224, vcc_lo, s7, v224, vcc_lo
	v_fma_f64 v[153:154], v[207:208], 2.0, -v[87:88]
	v_fma_f64 v[63:64], v[13:14], v[191:192], v[63:64]
	v_fma_f64 v[171:172], v[13:14], v[177:178], -v[15:16]
	v_fma_f64 v[16:17], v[17:18], v[147:148], -v[19:20]
	;; [unrolled: 1-line block ×5, first 2 shown]
	v_mul_f64 v[12:13], v[115:116], v[49:50]
	v_mul_f64 v[14:15], v[213:214], v[57:58]
	;; [unrolled: 1-line block ×23, first 2 shown]
	v_fma_f64 v[6:7], v[123:124], v[75:76], v[4:5]
	v_fma_f64 v[4:5], v[67:68], v[75:76], -v[8:9]
	v_fma_f64 v[10:11], v[115:116], v[77:78], v[10:11]
	v_add_co_u32 v178, vcc_lo, s6, v179
	v_add_co_ci_u32_e32 v179, vcc_lo, s7, v180, vcc_lo
	v_mul_f64 v[73:74], v[73:74], v[153:154]
	v_mul_f64 v[121:122], v[89:90], v[63:64]
	;; [unrolled: 1-line block ×3, first 2 shown]
	v_fma_f64 v[8:9], v[143:144], v[77:78], -v[12:13]
	v_fma_f64 v[14:15], v[199:200], v[131:132], v[14:15]
	v_fma_f64 v[12:13], v[213:214], v[131:132], -v[18:19]
	v_fma_f64 v[18:19], v[161:162], v[85:86], v[22:23]
	v_fma_f64 v[22:23], v[129:130], v[139:140], v[26:27]
	v_fma_f64 v[26:27], v[97:98], v[169:170], v[28:29]
	v_fma_f64 v[28:29], v[157:158], v[173:174], -v[34:35]
	v_fma_f64 v[42:43], v[111:112], v[24:25], v[47:48]
	v_fma_f64 v[34:35], v[107:108], v[125:126], v[38:39]
	;; [unrolled: 4-line block ×3, first 2 shown]
	v_fma_f64 v[54:55], v[149:150], v[83:84], v[59:60]
	v_fma_f64 v[52:53], v[141:142], v[83:84], -v[65:66]
	v_fma_f64 v[58:59], v[71:72], v[153:154], v[79:80]
	v_fma_f64 v[48:49], v[145:146], v[36:37], -v[81:82]
	v_fma_f64 v[44:45], v[137:138], v[32:33], -v[99:100]
	v_fma_f64 v[62:63], v[101:102], v[20:21], v[103:104]
	v_fma_f64 v[60:61], v[163:164], v[20:21], -v[105:106]
	v_fma_f64 v[36:37], v[91:92], v[16:17], -v[109:110]
	;; [unrolled: 1-line block ×3, first 2 shown]
	v_fma_f64 v[30:31], v[159:160], v[173:174], v[30:31]
	v_fma_f64 v[24:25], v[117:118], v[169:170], -v[147:148]
	v_fma_f64 v[20:21], v[205:206], v[139:140], -v[176:177]
	;; [unrolled: 1-line block ×4, first 2 shown]
	v_fma_f64 v[66:67], v[87:88], v[171:172], v[121:122]
	v_fma_f64 v[64:65], v[89:90], v[171:172], -v[133:134]
	v_lshlrev_b64 v[73:74], 4, v[69:70]
	v_add3_u32 v69, v175, v188, s9
	v_add_co_u32 v71, vcc_lo, s6, v229
	v_add_co_ci_u32_e32 v72, vcc_lo, s7, v230, vcc_lo
	s_delay_alu instid0(VALU_DEP_3) | instskip(SKIP_4) | instid1(VALU_DEP_4)
	v_lshlrev_b64 v[77:78], 4, v[69:70]
	v_add3_u32 v69, v175, v189, s9
	v_add_co_u32 v75, vcc_lo, s6, v183
	v_add_co_ci_u32_e32 v76, vcc_lo, s7, v184, vcc_lo
	v_add_co_u32 v73, vcc_lo, s6, v73
	v_lshlrev_b64 v[68:69], 4, v[69:70]
	v_add_co_ci_u32_e32 v74, vcc_lo, s7, v74, vcc_lo
	v_add_co_u32 v77, vcc_lo, s6, v77
	v_add_co_ci_u32_e32 v78, vcc_lo, s7, v78, vcc_lo
	s_delay_alu instid0(VALU_DEP_4)
	v_add_co_u32 v68, vcc_lo, s6, v68
	v_add_co_ci_u32_e32 v69, vcc_lo, s7, v69, vcc_lo
	s_clause 0xf
	global_store_b128 v[0:1], v[52:55], off
	global_store_b128 v[2:3], v[56:59], off
	;; [unrolled: 1-line block ×16, first 2 shown]
.LBB0_42:
	s_endpgm
	.section	.rodata,"a",@progbits
	.p2align	6, 0x0
	.amdhsa_kernel fft_rtc_fwd_len208_factors_13_16_wgs_144_tpt_16_dp_op_CI_CI_sbcc_twdbase8_3step_dirReg_intrinsicReadWrite
		.amdhsa_group_segment_fixed_size 0
		.amdhsa_private_segment_fixed_size 96
		.amdhsa_kernarg_size 112
		.amdhsa_user_sgpr_count 15
		.amdhsa_user_sgpr_dispatch_ptr 0
		.amdhsa_user_sgpr_queue_ptr 0
		.amdhsa_user_sgpr_kernarg_segment_ptr 1
		.amdhsa_user_sgpr_dispatch_id 0
		.amdhsa_user_sgpr_private_segment_size 0
		.amdhsa_wavefront_size32 1
		.amdhsa_uses_dynamic_stack 0
		.amdhsa_enable_private_segment 1
		.amdhsa_system_sgpr_workgroup_id_x 1
		.amdhsa_system_sgpr_workgroup_id_y 0
		.amdhsa_system_sgpr_workgroup_id_z 0
		.amdhsa_system_sgpr_workgroup_info 0
		.amdhsa_system_vgpr_workitem_id 0
		.amdhsa_next_free_vgpr 256
		.amdhsa_next_free_sgpr 56
		.amdhsa_reserve_vcc 1
		.amdhsa_float_round_mode_32 0
		.amdhsa_float_round_mode_16_64 0
		.amdhsa_float_denorm_mode_32 3
		.amdhsa_float_denorm_mode_16_64 3
		.amdhsa_dx10_clamp 1
		.amdhsa_ieee_mode 1
		.amdhsa_fp16_overflow 0
		.amdhsa_workgroup_processor_mode 1
		.amdhsa_memory_ordered 1
		.amdhsa_forward_progress 0
		.amdhsa_shared_vgpr_count 0
		.amdhsa_exception_fp_ieee_invalid_op 0
		.amdhsa_exception_fp_denorm_src 0
		.amdhsa_exception_fp_ieee_div_zero 0
		.amdhsa_exception_fp_ieee_overflow 0
		.amdhsa_exception_fp_ieee_underflow 0
		.amdhsa_exception_fp_ieee_inexact 0
		.amdhsa_exception_int_div_zero 0
	.end_amdhsa_kernel
	.text
.Lfunc_end0:
	.size	fft_rtc_fwd_len208_factors_13_16_wgs_144_tpt_16_dp_op_CI_CI_sbcc_twdbase8_3step_dirReg_intrinsicReadWrite, .Lfunc_end0-fft_rtc_fwd_len208_factors_13_16_wgs_144_tpt_16_dp_op_CI_CI_sbcc_twdbase8_3step_dirReg_intrinsicReadWrite
                                        ; -- End function
	.section	.AMDGPU.csdata,"",@progbits
; Kernel info:
; codeLenInByte = 13300
; NumSgprs: 58
; NumVgprs: 256
; ScratchSize: 96
; MemoryBound: 0
; FloatMode: 240
; IeeeMode: 1
; LDSByteSize: 0 bytes/workgroup (compile time only)
; SGPRBlocks: 7
; VGPRBlocks: 31
; NumSGPRsForWavesPerEU: 58
; NumVGPRsForWavesPerEU: 256
; Occupancy: 5
; WaveLimiterHint : 1
; COMPUTE_PGM_RSRC2:SCRATCH_EN: 1
; COMPUTE_PGM_RSRC2:USER_SGPR: 15
; COMPUTE_PGM_RSRC2:TRAP_HANDLER: 0
; COMPUTE_PGM_RSRC2:TGID_X_EN: 1
; COMPUTE_PGM_RSRC2:TGID_Y_EN: 0
; COMPUTE_PGM_RSRC2:TGID_Z_EN: 0
; COMPUTE_PGM_RSRC2:TIDIG_COMP_CNT: 0
	.text
	.p2alignl 7, 3214868480
	.fill 96, 4, 3214868480
	.type	__hip_cuid_4e35762308f145ad,@object ; @__hip_cuid_4e35762308f145ad
	.section	.bss,"aw",@nobits
	.globl	__hip_cuid_4e35762308f145ad
__hip_cuid_4e35762308f145ad:
	.byte	0                               ; 0x0
	.size	__hip_cuid_4e35762308f145ad, 1

	.ident	"AMD clang version 19.0.0git (https://github.com/RadeonOpenCompute/llvm-project roc-6.4.0 25133 c7fe45cf4b819c5991fe208aaa96edf142730f1d)"
	.section	".note.GNU-stack","",@progbits
	.addrsig
	.addrsig_sym __hip_cuid_4e35762308f145ad
	.amdgpu_metadata
---
amdhsa.kernels:
  - .args:
      - .actual_access:  read_only
        .address_space:  global
        .offset:         0
        .size:           8
        .value_kind:     global_buffer
      - .address_space:  global
        .offset:         8
        .size:           8
        .value_kind:     global_buffer
      - .offset:         16
        .size:           8
        .value_kind:     by_value
      - .actual_access:  read_only
        .address_space:  global
        .offset:         24
        .size:           8
        .value_kind:     global_buffer
      - .actual_access:  read_only
        .address_space:  global
        .offset:         32
        .size:           8
        .value_kind:     global_buffer
      - .actual_access:  read_only
        .address_space:  global
        .offset:         40
        .size:           8
        .value_kind:     global_buffer
      - .offset:         48
        .size:           8
        .value_kind:     by_value
      - .actual_access:  read_only
        .address_space:  global
        .offset:         56
        .size:           8
        .value_kind:     global_buffer
      - .actual_access:  read_only
        .address_space:  global
        .offset:         64
        .size:           8
        .value_kind:     global_buffer
      - .offset:         72
        .size:           4
        .value_kind:     by_value
      - .actual_access:  read_only
        .address_space:  global
        .offset:         80
        .size:           8
        .value_kind:     global_buffer
      - .actual_access:  read_only
        .address_space:  global
        .offset:         88
        .size:           8
        .value_kind:     global_buffer
      - .actual_access:  read_only
        .address_space:  global
        .offset:         96
        .size:           8
        .value_kind:     global_buffer
      - .actual_access:  write_only
        .address_space:  global
        .offset:         104
        .size:           8
        .value_kind:     global_buffer
    .group_segment_fixed_size: 0
    .kernarg_segment_align: 8
    .kernarg_segment_size: 112
    .language:       OpenCL C
    .language_version:
      - 2
      - 0
    .max_flat_workgroup_size: 144
    .name:           fft_rtc_fwd_len208_factors_13_16_wgs_144_tpt_16_dp_op_CI_CI_sbcc_twdbase8_3step_dirReg_intrinsicReadWrite
    .private_segment_fixed_size: 96
    .sgpr_count:     58
    .sgpr_spill_count: 0
    .symbol:         fft_rtc_fwd_len208_factors_13_16_wgs_144_tpt_16_dp_op_CI_CI_sbcc_twdbase8_3step_dirReg_intrinsicReadWrite.kd
    .uniform_work_group_size: 1
    .uses_dynamic_stack: false
    .vgpr_count:     256
    .vgpr_spill_count: 29
    .wavefront_size: 32
    .workgroup_processor_mode: 1
amdhsa.target:   amdgcn-amd-amdhsa--gfx1100
amdhsa.version:
  - 1
  - 2
...

	.end_amdgpu_metadata
